;; amdgpu-corpus repo=ROCm/rocm-libraries kind=compiled arch=gfx1100 opt=O3
	.text
	.amdgcn_target "amdgcn-amd-amdhsa--gfx1100"
	.amdhsa_code_object_version 6
	.protected	Cat8FwdPacked           ; -- Begin function Cat8FwdPacked
	.globl	Cat8FwdPacked
	.p2align	8
	.type	Cat8FwdPacked,@function
Cat8FwdPacked:                          ; @Cat8FwdPacked
; %bb.0:
	s_clause 0x1
	s_load_b32 s4, s[0:1], 0xac
	s_load_b128 s[36:39], s[0:1], 0x88
	v_bfe_u32 v1, v0, 10, 10
	s_add_u32 s2, s0, 0xa0
	s_addc_u32 s3, s1, 0
	s_waitcnt lgkmcnt(0)
	s_lshr_b32 s4, s4, 16
	s_delay_alu instid0(SALU_CYCLE_1) | instskip(SKIP_2) | instid1(VALU_DEP_1)
	v_mad_u64_u32 v[3:4], null, s15, s4, v[1:2]
	v_mov_b32_e32 v4, 0
	s_mov_b32 s4, exec_lo
	v_cmpx_gt_u64_e64 s[36:37], v[3:4]
	s_cbranch_execz .LBB0_80
; %bb.1:
	s_clause 0x3
	s_load_b64 s[4:5], s[0:1], 0x98
	s_load_b64 s[8:9], s[0:1], 0x40
	;; [unrolled: 1-line block ×3, first 2 shown]
	s_load_b512 s[16:31], s[0:1], 0x48
	v_and_b32_e32 v0, 0x3ff, v0
	s_waitcnt lgkmcnt(0)
	s_mul_i32 s10, s4, s38
	s_mul_i32 s5, s5, s38
	v_mad_u64_u32 v[1:2], null, s10, v3, s[8:9]
	s_mul_i32 s8, s4, s39
	s_mul_hi_u32 s4, s4, s38
	s_delay_alu instid0(SALU_CYCLE_1) | instskip(NEXT) | instid1(SALU_CYCLE_1)
	s_add_i32 s4, s4, s8
	s_add_i32 s4, s4, s5
	s_cmp_eq_u64 s[6:7], 0
	s_delay_alu instid0(VALU_DEP_1) | instskip(NEXT) | instid1(VALU_DEP_1)
	v_mad_u64_u32 v[4:5], null, s4, v3, v[2:3]
	v_mov_b32_e32 v9, v4
	s_cbranch_scc1 .LBB0_11
; %bb.2:
	s_load_b32 s8, s[2:3], 0x0
	v_mov_b32_e32 v8, 0
	s_waitcnt lgkmcnt(0)
	s_cmp_lt_u32 s14, s8
	s_cselect_b32 s4, 12, 18
	s_delay_alu instid0(SALU_CYCLE_1)
	s_add_u32 s4, s2, s4
	s_addc_u32 s5, s3, 0
	global_load_u16 v7, v8, s[4:5]
	s_mul_i32 s4, s38, s16
	s_mul_i32 s5, s38, s17
	v_mad_u64_u32 v[4:5], null, s4, v3, s[6:7]
	s_mul_hi_u32 s6, s38, s16
	s_mul_i32 s7, s39, s16
	s_add_i32 s5, s6, s5
	s_mov_b32 s6, exec_lo
	s_add_i32 s5, s5, s7
	s_mov_b32 s7, 0
	s_delay_alu instid0(VALU_DEP_1) | instskip(SKIP_3) | instid1(VALU_DEP_1)
	v_mov_b32_e32 v2, v5
	s_waitcnt vmcnt(0)
	v_mad_u64_u32 v[10:11], null, s14, v7, v[0:1]
	v_mov_b32_e32 v11, v8
	v_lshlrev_b64 v[5:6], 3, v[10:11]
	v_mad_u64_u32 v[10:11], null, s5, v3, v[2:3]
	s_delay_alu instid0(VALU_DEP_2) | instskip(NEXT) | instid1(VALU_DEP_3)
	v_add_co_u32 v11, vcc_lo, v5, 8
	v_add_co_ci_u32_e32 v12, vcc_lo, 0, v6, vcc_lo
	s_delay_alu instid0(VALU_DEP_3) | instskip(NEXT) | instid1(VALU_DEP_2)
	v_mov_b32_e32 v2, v10
	v_cmpx_ge_u64_e64 s[4:5], v[11:12]
	s_cbranch_execz .LBB0_6
; %bb.3:
	v_mul_lo_u32 v7, s8, v7
	s_delay_alu instid0(VALU_DEP_1)
	v_lshlrev_b64 v[7:8], 3, v[7:8]
	.p2align	6
.LBB0_4:                                ; =>This Inner Loop Header: Depth=1
	v_add_co_u32 v10, vcc_lo, v4, v5
	v_add_co_ci_u32_e32 v11, vcc_lo, v2, v6, vcc_lo
	v_add_co_u32 v12, vcc_lo, v1, v5
	v_add_co_ci_u32_e32 v13, vcc_lo, v9, v6, vcc_lo
	global_load_b64 v[10:11], v[10:11], off
	v_add_co_u32 v5, vcc_lo, v5, v7
	v_add_co_ci_u32_e32 v6, vcc_lo, v6, v8, vcc_lo
	s_delay_alu instid0(VALU_DEP_2) | instskip(NEXT) | instid1(VALU_DEP_2)
	v_add_co_u32 v14, vcc_lo, v5, 8
	v_add_co_ci_u32_e32 v15, vcc_lo, 0, v6, vcc_lo
	s_delay_alu instid0(VALU_DEP_1)
	v_cmp_lt_u64_e32 vcc_lo, s[4:5], v[14:15]
	s_or_b32 s7, vcc_lo, s7
	s_waitcnt vmcnt(0)
	global_store_b64 v[12:13], v[10:11], off
	s_and_not1_b32 exec_lo, exec_lo, s7
	s_cbranch_execnz .LBB0_4
; %bb.5:
	s_or_b32 exec_lo, exec_lo, s7
.LBB0_6:
	s_delay_alu instid0(SALU_CYCLE_1) | instskip(SKIP_3) | instid1(VALU_DEP_1)
	s_or_b32 exec_lo, exec_lo, s6
	v_or_b32_e32 v7, 4, v5
	v_mov_b32_e32 v8, v6
	s_mov_b32 s6, exec_lo
	v_cmpx_ge_u64_e64 s[4:5], v[7:8]
	s_cbranch_execz .LBB0_8
; %bb.7:
	v_add_co_u32 v10, vcc_lo, v4, v5
	v_add_co_ci_u32_e32 v11, vcc_lo, v2, v6, vcc_lo
	global_load_b32 v12, v[10:11], off
	v_add_co_u32 v10, vcc_lo, v1, v5
	v_add_co_ci_u32_e32 v11, vcc_lo, v9, v6, vcc_lo
	v_dual_mov_b32 v5, v7 :: v_dual_mov_b32 v6, v8
	s_waitcnt vmcnt(0)
	global_store_b32 v[10:11], v12, off
.LBB0_8:
	s_or_b32 exec_lo, exec_lo, s6
	s_delay_alu instid0(SALU_CYCLE_1)
	s_mov_b32 s6, exec_lo
	v_cmpx_gt_u64_e64 s[4:5], v[5:6]
	s_cbranch_execz .LBB0_10
; %bb.9:
	v_add_co_u32 v7, vcc_lo, v4, v5
	v_add_co_ci_u32_e32 v8, vcc_lo, v2, v6, vcc_lo
	v_add_co_u32 v4, vcc_lo, v1, v5
	v_add_co_ci_u32_e32 v5, vcc_lo, v9, v6, vcc_lo
	global_load_u16 v2, v[7:8], off
	s_waitcnt vmcnt(0)
	global_store_b16 v[4:5], v2, off
.LBB0_10:
	s_or_b32 exec_lo, exec_lo, s6
	v_add_co_u32 v1, vcc_lo, v1, s4
	v_add_co_ci_u32_e32 v9, vcc_lo, s5, v9, vcc_lo
.LBB0_11:
	s_clause 0x2
	s_load_b256 s[4:11], s[0:1], 0x8
	s_load_b128 s[40:43], s[0:1], 0x28
	s_load_b64 s[0:1], s[0:1], 0x38
	s_waitcnt lgkmcnt(0)
	s_cmp_eq_u64 s[4:5], 0
	s_cbranch_scc1 .LBB0_21
; %bb.12:
	s_load_b32 s15, s[2:3], 0x0
	v_mov_b32_e32 v8, 0
	s_waitcnt lgkmcnt(0)
	s_cmp_lt_u32 s14, s15
	s_cselect_b32 s12, 12, 18
	s_delay_alu instid0(SALU_CYCLE_1)
	s_add_u32 s12, s2, s12
	s_addc_u32 s13, s3, 0
	global_load_u16 v7, v8, s[12:13]
	s_mul_i32 s12, s38, s18
	s_mul_i32 s13, s39, s18
	v_mad_u64_u32 v[4:5], null, s12, v3, s[4:5]
	s_mul_i32 s4, s38, s19
	s_mul_hi_u32 s5, s38, s18
	s_delay_alu instid0(SALU_CYCLE_1) | instskip(SKIP_3) | instid1(VALU_DEP_1)
	s_add_i32 s4, s5, s4
	s_mov_b32 s5, 0
	s_add_i32 s13, s4, s13
	s_mov_b32 s4, exec_lo
	v_mov_b32_e32 v2, v5
	s_waitcnt vmcnt(0)
	v_mad_u64_u32 v[10:11], null, s14, v7, v[0:1]
	v_mov_b32_e32 v11, v8
	s_delay_alu instid0(VALU_DEP_1) | instskip(SKIP_1) | instid1(VALU_DEP_2)
	v_lshlrev_b64 v[5:6], 3, v[10:11]
	v_mad_u64_u32 v[10:11], null, s13, v3, v[2:3]
	v_add_co_u32 v11, vcc_lo, v5, 8
	s_delay_alu instid0(VALU_DEP_3) | instskip(NEXT) | instid1(VALU_DEP_3)
	v_add_co_ci_u32_e32 v12, vcc_lo, 0, v6, vcc_lo
	v_mov_b32_e32 v2, v10
	s_delay_alu instid0(VALU_DEP_2)
	v_cmpx_ge_u64_e64 s[12:13], v[11:12]
	s_cbranch_execz .LBB0_16
; %bb.13:
	v_mul_lo_u32 v7, s15, v7
	s_delay_alu instid0(VALU_DEP_1)
	v_lshlrev_b64 v[7:8], 3, v[7:8]
	.p2align	6
.LBB0_14:                               ; =>This Inner Loop Header: Depth=1
	v_add_co_u32 v10, vcc_lo, v4, v5
	v_add_co_ci_u32_e32 v11, vcc_lo, v2, v6, vcc_lo
	v_add_co_u32 v12, vcc_lo, v1, v5
	v_add_co_ci_u32_e32 v13, vcc_lo, v9, v6, vcc_lo
	global_load_b64 v[10:11], v[10:11], off
	v_add_co_u32 v5, vcc_lo, v5, v7
	v_add_co_ci_u32_e32 v6, vcc_lo, v6, v8, vcc_lo
	s_delay_alu instid0(VALU_DEP_2) | instskip(NEXT) | instid1(VALU_DEP_2)
	v_add_co_u32 v14, vcc_lo, v5, 8
	v_add_co_ci_u32_e32 v15, vcc_lo, 0, v6, vcc_lo
	s_delay_alu instid0(VALU_DEP_1)
	v_cmp_lt_u64_e32 vcc_lo, s[12:13], v[14:15]
	s_or_b32 s5, vcc_lo, s5
	s_waitcnt vmcnt(0)
	global_store_b64 v[12:13], v[10:11], off
	s_and_not1_b32 exec_lo, exec_lo, s5
	s_cbranch_execnz .LBB0_14
; %bb.15:
	s_or_b32 exec_lo, exec_lo, s5
.LBB0_16:
	s_delay_alu instid0(SALU_CYCLE_1) | instskip(SKIP_3) | instid1(VALU_DEP_1)
	s_or_b32 exec_lo, exec_lo, s4
	v_or_b32_e32 v7, 4, v5
	v_mov_b32_e32 v8, v6
	s_mov_b32 s4, exec_lo
	v_cmpx_ge_u64_e64 s[12:13], v[7:8]
	s_cbranch_execz .LBB0_18
; %bb.17:
	v_add_co_u32 v10, vcc_lo, v4, v5
	v_add_co_ci_u32_e32 v11, vcc_lo, v2, v6, vcc_lo
	global_load_b32 v12, v[10:11], off
	v_add_co_u32 v10, vcc_lo, v1, v5
	v_add_co_ci_u32_e32 v11, vcc_lo, v9, v6, vcc_lo
	v_dual_mov_b32 v5, v7 :: v_dual_mov_b32 v6, v8
	s_waitcnt vmcnt(0)
	global_store_b32 v[10:11], v12, off
.LBB0_18:
	s_or_b32 exec_lo, exec_lo, s4
	s_delay_alu instid0(SALU_CYCLE_1)
	s_mov_b32 s4, exec_lo
	v_cmpx_gt_u64_e64 s[12:13], v[5:6]
	s_cbranch_execz .LBB0_20
; %bb.19:
	v_add_co_u32 v7, vcc_lo, v4, v5
	v_add_co_ci_u32_e32 v8, vcc_lo, v2, v6, vcc_lo
	v_add_co_u32 v4, vcc_lo, v1, v5
	v_add_co_ci_u32_e32 v5, vcc_lo, v9, v6, vcc_lo
	global_load_u16 v2, v[7:8], off
	s_waitcnt vmcnt(0)
	global_store_b16 v[4:5], v2, off
.LBB0_20:
	s_or_b32 exec_lo, exec_lo, s4
	v_add_co_u32 v1, vcc_lo, v1, s12
	v_add_co_ci_u32_e32 v9, vcc_lo, s13, v9, vcc_lo
.LBB0_21:
	s_cmp_eq_u64 s[6:7], 0
	s_cbranch_scc1 .LBB0_31
; %bb.22:
	s_load_b32 s12, s[2:3], 0x0
	v_mov_b32_e32 v8, 0
	s_waitcnt lgkmcnt(0)
	s_cmp_lt_u32 s14, s12
	s_cselect_b32 s4, 12, 18
	s_delay_alu instid0(SALU_CYCLE_1)
	s_add_u32 s4, s2, s4
	s_addc_u32 s5, s3, 0
	global_load_u16 v7, v8, s[4:5]
	s_mul_i32 s4, s38, s20
	s_mul_i32 s5, s38, s21
	v_mad_u64_u32 v[4:5], null, s4, v3, s[6:7]
	s_mul_hi_u32 s6, s38, s20
	s_mul_i32 s7, s39, s20
	s_add_i32 s5, s6, s5
	s_mov_b32 s6, exec_lo
	s_add_i32 s5, s5, s7
	s_mov_b32 s7, 0
	s_delay_alu instid0(VALU_DEP_1) | instskip(SKIP_3) | instid1(VALU_DEP_1)
	v_mov_b32_e32 v2, v5
	s_waitcnt vmcnt(0)
	v_mad_u64_u32 v[10:11], null, s14, v7, v[0:1]
	v_mov_b32_e32 v11, v8
	v_lshlrev_b64 v[5:6], 3, v[10:11]
	v_mad_u64_u32 v[10:11], null, s5, v3, v[2:3]
	s_delay_alu instid0(VALU_DEP_2) | instskip(NEXT) | instid1(VALU_DEP_3)
	v_add_co_u32 v11, vcc_lo, v5, 8
	v_add_co_ci_u32_e32 v12, vcc_lo, 0, v6, vcc_lo
	s_delay_alu instid0(VALU_DEP_3) | instskip(NEXT) | instid1(VALU_DEP_2)
	v_mov_b32_e32 v2, v10
	v_cmpx_ge_u64_e64 s[4:5], v[11:12]
	s_cbranch_execz .LBB0_26
; %bb.23:
	v_mul_lo_u32 v7, s12, v7
	s_delay_alu instid0(VALU_DEP_1)
	v_lshlrev_b64 v[7:8], 3, v[7:8]
	.p2align	6
.LBB0_24:                               ; =>This Inner Loop Header: Depth=1
	v_add_co_u32 v10, vcc_lo, v4, v5
	v_add_co_ci_u32_e32 v11, vcc_lo, v2, v6, vcc_lo
	v_add_co_u32 v12, vcc_lo, v1, v5
	v_add_co_ci_u32_e32 v13, vcc_lo, v9, v6, vcc_lo
	global_load_b64 v[10:11], v[10:11], off
	v_add_co_u32 v5, vcc_lo, v5, v7
	v_add_co_ci_u32_e32 v6, vcc_lo, v6, v8, vcc_lo
	s_delay_alu instid0(VALU_DEP_2) | instskip(NEXT) | instid1(VALU_DEP_2)
	v_add_co_u32 v14, vcc_lo, v5, 8
	v_add_co_ci_u32_e32 v15, vcc_lo, 0, v6, vcc_lo
	s_delay_alu instid0(VALU_DEP_1)
	v_cmp_lt_u64_e32 vcc_lo, s[4:5], v[14:15]
	s_or_b32 s7, vcc_lo, s7
	s_waitcnt vmcnt(0)
	global_store_b64 v[12:13], v[10:11], off
	s_and_not1_b32 exec_lo, exec_lo, s7
	s_cbranch_execnz .LBB0_24
; %bb.25:
	s_or_b32 exec_lo, exec_lo, s7
.LBB0_26:
	s_delay_alu instid0(SALU_CYCLE_1) | instskip(SKIP_3) | instid1(VALU_DEP_1)
	s_or_b32 exec_lo, exec_lo, s6
	v_or_b32_e32 v7, 4, v5
	v_mov_b32_e32 v8, v6
	s_mov_b32 s6, exec_lo
	v_cmpx_ge_u64_e64 s[4:5], v[7:8]
	s_cbranch_execz .LBB0_28
; %bb.27:
	v_add_co_u32 v10, vcc_lo, v4, v5
	v_add_co_ci_u32_e32 v11, vcc_lo, v2, v6, vcc_lo
	global_load_b32 v12, v[10:11], off
	v_add_co_u32 v10, vcc_lo, v1, v5
	v_add_co_ci_u32_e32 v11, vcc_lo, v9, v6, vcc_lo
	v_dual_mov_b32 v5, v7 :: v_dual_mov_b32 v6, v8
	s_waitcnt vmcnt(0)
	global_store_b32 v[10:11], v12, off
.LBB0_28:
	s_or_b32 exec_lo, exec_lo, s6
	s_delay_alu instid0(SALU_CYCLE_1)
	s_mov_b32 s6, exec_lo
	v_cmpx_gt_u64_e64 s[4:5], v[5:6]
	s_cbranch_execz .LBB0_30
; %bb.29:
	v_add_co_u32 v7, vcc_lo, v4, v5
	v_add_co_ci_u32_e32 v8, vcc_lo, v2, v6, vcc_lo
	v_add_co_u32 v4, vcc_lo, v1, v5
	v_add_co_ci_u32_e32 v5, vcc_lo, v9, v6, vcc_lo
	global_load_u16 v2, v[7:8], off
	s_waitcnt vmcnt(0)
	global_store_b16 v[4:5], v2, off
.LBB0_30:
	s_or_b32 exec_lo, exec_lo, s6
	v_add_co_u32 v1, vcc_lo, v1, s4
	v_add_co_ci_u32_e32 v9, vcc_lo, s5, v9, vcc_lo
.LBB0_31:
	s_cmp_eq_u64 s[8:9], 0
	s_cbranch_scc1 .LBB0_41
; %bb.32:
	s_load_b32 s6, s[2:3], 0x0
	v_mov_b32_e32 v8, 0
	s_mul_hi_u32 s7, s38, s22
	s_waitcnt lgkmcnt(0)
	s_cmp_lt_u32 s14, s6
	s_cselect_b32 s4, 12, 18
	s_delay_alu instid0(SALU_CYCLE_1)
	s_add_u32 s4, s2, s4
	s_addc_u32 s5, s3, 0
	global_load_u16 v7, v8, s[4:5]
	s_mul_i32 s4, s38, s22
	s_mul_i32 s5, s38, s23
	v_mad_u64_u32 v[4:5], null, s4, v3, s[8:9]
	s_mul_i32 s8, s39, s22
	s_add_i32 s5, s7, s5
	s_mov_b32 s7, exec_lo
	s_add_i32 s5, s5, s8
	s_mov_b32 s8, 0
	s_delay_alu instid0(VALU_DEP_1) | instskip(SKIP_3) | instid1(VALU_DEP_1)
	v_mov_b32_e32 v2, v5
	s_waitcnt vmcnt(0)
	v_mad_u64_u32 v[10:11], null, s14, v7, v[0:1]
	v_mov_b32_e32 v11, v8
	v_lshlrev_b64 v[5:6], 3, v[10:11]
	v_mad_u64_u32 v[10:11], null, s5, v3, v[2:3]
	s_delay_alu instid0(VALU_DEP_2) | instskip(NEXT) | instid1(VALU_DEP_3)
	v_add_co_u32 v11, vcc_lo, v5, 8
	v_add_co_ci_u32_e32 v12, vcc_lo, 0, v6, vcc_lo
	s_delay_alu instid0(VALU_DEP_3) | instskip(NEXT) | instid1(VALU_DEP_2)
	v_mov_b32_e32 v2, v10
	v_cmpx_ge_u64_e64 s[4:5], v[11:12]
	s_cbranch_execz .LBB0_36
; %bb.33:
	v_mul_lo_u32 v7, s6, v7
	s_delay_alu instid0(VALU_DEP_1)
	v_lshlrev_b64 v[7:8], 3, v[7:8]
	.p2align	6
.LBB0_34:                               ; =>This Inner Loop Header: Depth=1
	v_add_co_u32 v10, vcc_lo, v4, v5
	v_add_co_ci_u32_e32 v11, vcc_lo, v2, v6, vcc_lo
	v_add_co_u32 v12, vcc_lo, v1, v5
	v_add_co_ci_u32_e32 v13, vcc_lo, v9, v6, vcc_lo
	global_load_b64 v[10:11], v[10:11], off
	v_add_co_u32 v5, vcc_lo, v5, v7
	v_add_co_ci_u32_e32 v6, vcc_lo, v6, v8, vcc_lo
	s_delay_alu instid0(VALU_DEP_2) | instskip(NEXT) | instid1(VALU_DEP_2)
	v_add_co_u32 v14, vcc_lo, v5, 8
	v_add_co_ci_u32_e32 v15, vcc_lo, 0, v6, vcc_lo
	s_delay_alu instid0(VALU_DEP_1)
	v_cmp_lt_u64_e32 vcc_lo, s[4:5], v[14:15]
	s_or_b32 s8, vcc_lo, s8
	s_waitcnt vmcnt(0)
	global_store_b64 v[12:13], v[10:11], off
	s_and_not1_b32 exec_lo, exec_lo, s8
	s_cbranch_execnz .LBB0_34
; %bb.35:
	s_or_b32 exec_lo, exec_lo, s8
.LBB0_36:
	s_delay_alu instid0(SALU_CYCLE_1) | instskip(SKIP_3) | instid1(VALU_DEP_1)
	s_or_b32 exec_lo, exec_lo, s7
	v_or_b32_e32 v7, 4, v5
	v_mov_b32_e32 v8, v6
	s_mov_b32 s6, exec_lo
	v_cmpx_ge_u64_e64 s[4:5], v[7:8]
	s_cbranch_execz .LBB0_38
; %bb.37:
	v_add_co_u32 v10, vcc_lo, v4, v5
	v_add_co_ci_u32_e32 v11, vcc_lo, v2, v6, vcc_lo
	global_load_b32 v12, v[10:11], off
	v_add_co_u32 v10, vcc_lo, v1, v5
	v_add_co_ci_u32_e32 v11, vcc_lo, v9, v6, vcc_lo
	v_dual_mov_b32 v5, v7 :: v_dual_mov_b32 v6, v8
	s_waitcnt vmcnt(0)
	global_store_b32 v[10:11], v12, off
.LBB0_38:
	s_or_b32 exec_lo, exec_lo, s6
	s_delay_alu instid0(SALU_CYCLE_1)
	s_mov_b32 s6, exec_lo
	v_cmpx_gt_u64_e64 s[4:5], v[5:6]
	s_cbranch_execz .LBB0_40
; %bb.39:
	v_add_co_u32 v7, vcc_lo, v4, v5
	v_add_co_ci_u32_e32 v8, vcc_lo, v2, v6, vcc_lo
	v_add_co_u32 v4, vcc_lo, v1, v5
	v_add_co_ci_u32_e32 v5, vcc_lo, v9, v6, vcc_lo
	global_load_u16 v2, v[7:8], off
	s_waitcnt vmcnt(0)
	global_store_b16 v[4:5], v2, off
.LBB0_40:
	s_or_b32 exec_lo, exec_lo, s6
	v_add_co_u32 v1, vcc_lo, v1, s4
	v_add_co_ci_u32_e32 v9, vcc_lo, s5, v9, vcc_lo
.LBB0_41:
	s_cmp_eq_u64 s[10:11], 0
	s_cbranch_scc1 .LBB0_51
; %bb.42:
	s_load_b32 s6, s[2:3], 0x0
	v_mov_b32_e32 v8, 0
	s_mul_hi_u32 s7, s38, s24
	s_mul_i32 s8, s39, s24
	s_waitcnt lgkmcnt(0)
	s_cmp_lt_u32 s14, s6
	s_cselect_b32 s4, 12, 18
	s_delay_alu instid0(SALU_CYCLE_1)
	s_add_u32 s4, s2, s4
	s_addc_u32 s5, s3, 0
	global_load_u16 v7, v8, s[4:5]
	s_mul_i32 s4, s38, s24
	s_mul_i32 s5, s38, s25
	v_mad_u64_u32 v[4:5], null, s4, v3, s[10:11]
	s_add_i32 s5, s7, s5
	s_mov_b32 s7, exec_lo
	s_add_i32 s5, s5, s8
	s_mov_b32 s8, 0
	s_delay_alu instid0(VALU_DEP_1) | instskip(SKIP_3) | instid1(VALU_DEP_1)
	v_mov_b32_e32 v2, v5
	s_waitcnt vmcnt(0)
	v_mad_u64_u32 v[10:11], null, s14, v7, v[0:1]
	v_mov_b32_e32 v11, v8
	v_lshlrev_b64 v[5:6], 3, v[10:11]
	v_mad_u64_u32 v[10:11], null, s5, v3, v[2:3]
	s_delay_alu instid0(VALU_DEP_2) | instskip(NEXT) | instid1(VALU_DEP_3)
	v_add_co_u32 v11, vcc_lo, v5, 8
	v_add_co_ci_u32_e32 v12, vcc_lo, 0, v6, vcc_lo
	s_delay_alu instid0(VALU_DEP_3) | instskip(NEXT) | instid1(VALU_DEP_2)
	v_mov_b32_e32 v2, v10
	v_cmpx_ge_u64_e64 s[4:5], v[11:12]
	s_cbranch_execz .LBB0_46
; %bb.43:
	v_mul_lo_u32 v7, s6, v7
	s_delay_alu instid0(VALU_DEP_1)
	v_lshlrev_b64 v[7:8], 3, v[7:8]
	.p2align	6
.LBB0_44:                               ; =>This Inner Loop Header: Depth=1
	v_add_co_u32 v10, vcc_lo, v4, v5
	v_add_co_ci_u32_e32 v11, vcc_lo, v2, v6, vcc_lo
	v_add_co_u32 v12, vcc_lo, v1, v5
	v_add_co_ci_u32_e32 v13, vcc_lo, v9, v6, vcc_lo
	global_load_b64 v[10:11], v[10:11], off
	v_add_co_u32 v5, vcc_lo, v5, v7
	v_add_co_ci_u32_e32 v6, vcc_lo, v6, v8, vcc_lo
	s_delay_alu instid0(VALU_DEP_2) | instskip(NEXT) | instid1(VALU_DEP_2)
	v_add_co_u32 v14, vcc_lo, v5, 8
	v_add_co_ci_u32_e32 v15, vcc_lo, 0, v6, vcc_lo
	s_delay_alu instid0(VALU_DEP_1)
	v_cmp_lt_u64_e32 vcc_lo, s[4:5], v[14:15]
	s_or_b32 s8, vcc_lo, s8
	s_waitcnt vmcnt(0)
	global_store_b64 v[12:13], v[10:11], off
	s_and_not1_b32 exec_lo, exec_lo, s8
	s_cbranch_execnz .LBB0_44
; %bb.45:
	s_or_b32 exec_lo, exec_lo, s8
.LBB0_46:
	s_delay_alu instid0(SALU_CYCLE_1) | instskip(SKIP_3) | instid1(VALU_DEP_1)
	s_or_b32 exec_lo, exec_lo, s7
	v_or_b32_e32 v7, 4, v5
	v_mov_b32_e32 v8, v6
	s_mov_b32 s6, exec_lo
	v_cmpx_ge_u64_e64 s[4:5], v[7:8]
	s_cbranch_execz .LBB0_48
; %bb.47:
	v_add_co_u32 v10, vcc_lo, v4, v5
	v_add_co_ci_u32_e32 v11, vcc_lo, v2, v6, vcc_lo
	global_load_b32 v12, v[10:11], off
	v_add_co_u32 v10, vcc_lo, v1, v5
	v_add_co_ci_u32_e32 v11, vcc_lo, v9, v6, vcc_lo
	v_dual_mov_b32 v5, v7 :: v_dual_mov_b32 v6, v8
	s_waitcnt vmcnt(0)
	global_store_b32 v[10:11], v12, off
.LBB0_48:
	s_or_b32 exec_lo, exec_lo, s6
	s_delay_alu instid0(SALU_CYCLE_1)
	s_mov_b32 s6, exec_lo
	v_cmpx_gt_u64_e64 s[4:5], v[5:6]
	s_cbranch_execz .LBB0_50
; %bb.49:
	v_add_co_u32 v7, vcc_lo, v4, v5
	v_add_co_ci_u32_e32 v8, vcc_lo, v2, v6, vcc_lo
	v_add_co_u32 v4, vcc_lo, v1, v5
	v_add_co_ci_u32_e32 v5, vcc_lo, v9, v6, vcc_lo
	global_load_u16 v2, v[7:8], off
	s_waitcnt vmcnt(0)
	global_store_b16 v[4:5], v2, off
.LBB0_50:
	s_or_b32 exec_lo, exec_lo, s6
	v_add_co_u32 v1, vcc_lo, v1, s4
	v_add_co_ci_u32_e32 v9, vcc_lo, s5, v9, vcc_lo
.LBB0_51:
	s_cmp_eq_u64 s[40:41], 0
	s_cbranch_scc1 .LBB0_61
; %bb.52:
	s_load_b32 s6, s[2:3], 0x0
	v_mov_b32_e32 v8, 0
	s_mul_hi_u32 s7, s38, s26
	s_mul_i32 s8, s39, s26
	s_waitcnt lgkmcnt(0)
	s_cmp_lt_u32 s14, s6
	s_cselect_b32 s4, 12, 18
	s_delay_alu instid0(SALU_CYCLE_1)
	s_add_u32 s4, s2, s4
	s_addc_u32 s5, s3, 0
	global_load_u16 v7, v8, s[4:5]
	s_mul_i32 s4, s38, s26
	s_mul_i32 s5, s38, s27
	v_mad_u64_u32 v[4:5], null, s4, v3, s[40:41]
	s_add_i32 s5, s7, s5
	s_mov_b32 s7, exec_lo
	s_add_i32 s5, s5, s8
	s_mov_b32 s8, 0
	s_delay_alu instid0(VALU_DEP_1) | instskip(SKIP_3) | instid1(VALU_DEP_1)
	v_mov_b32_e32 v2, v5
	s_waitcnt vmcnt(0)
	v_mad_u64_u32 v[10:11], null, s14, v7, v[0:1]
	v_mov_b32_e32 v11, v8
	v_lshlrev_b64 v[5:6], 3, v[10:11]
	v_mad_u64_u32 v[10:11], null, s5, v3, v[2:3]
	s_delay_alu instid0(VALU_DEP_2) | instskip(NEXT) | instid1(VALU_DEP_3)
	v_add_co_u32 v11, vcc_lo, v5, 8
	v_add_co_ci_u32_e32 v12, vcc_lo, 0, v6, vcc_lo
	s_delay_alu instid0(VALU_DEP_3) | instskip(NEXT) | instid1(VALU_DEP_2)
	v_mov_b32_e32 v2, v10
	v_cmpx_ge_u64_e64 s[4:5], v[11:12]
	s_cbranch_execz .LBB0_56
; %bb.53:
	v_mul_lo_u32 v7, s6, v7
	s_delay_alu instid0(VALU_DEP_1)
	v_lshlrev_b64 v[7:8], 3, v[7:8]
	.p2align	6
.LBB0_54:                               ; =>This Inner Loop Header: Depth=1
	v_add_co_u32 v10, vcc_lo, v4, v5
	v_add_co_ci_u32_e32 v11, vcc_lo, v2, v6, vcc_lo
	v_add_co_u32 v12, vcc_lo, v1, v5
	v_add_co_ci_u32_e32 v13, vcc_lo, v9, v6, vcc_lo
	global_load_b64 v[10:11], v[10:11], off
	v_add_co_u32 v5, vcc_lo, v5, v7
	v_add_co_ci_u32_e32 v6, vcc_lo, v6, v8, vcc_lo
	s_delay_alu instid0(VALU_DEP_2) | instskip(NEXT) | instid1(VALU_DEP_2)
	v_add_co_u32 v14, vcc_lo, v5, 8
	v_add_co_ci_u32_e32 v15, vcc_lo, 0, v6, vcc_lo
	s_delay_alu instid0(VALU_DEP_1)
	v_cmp_lt_u64_e32 vcc_lo, s[4:5], v[14:15]
	s_or_b32 s8, vcc_lo, s8
	s_waitcnt vmcnt(0)
	global_store_b64 v[12:13], v[10:11], off
	s_and_not1_b32 exec_lo, exec_lo, s8
	s_cbranch_execnz .LBB0_54
; %bb.55:
	s_or_b32 exec_lo, exec_lo, s8
.LBB0_56:
	s_delay_alu instid0(SALU_CYCLE_1) | instskip(SKIP_3) | instid1(VALU_DEP_1)
	s_or_b32 exec_lo, exec_lo, s7
	v_or_b32_e32 v7, 4, v5
	v_mov_b32_e32 v8, v6
	s_mov_b32 s6, exec_lo
	v_cmpx_ge_u64_e64 s[4:5], v[7:8]
	s_cbranch_execz .LBB0_58
; %bb.57:
	v_add_co_u32 v10, vcc_lo, v4, v5
	v_add_co_ci_u32_e32 v11, vcc_lo, v2, v6, vcc_lo
	global_load_b32 v12, v[10:11], off
	v_add_co_u32 v10, vcc_lo, v1, v5
	v_add_co_ci_u32_e32 v11, vcc_lo, v9, v6, vcc_lo
	v_dual_mov_b32 v5, v7 :: v_dual_mov_b32 v6, v8
	s_waitcnt vmcnt(0)
	global_store_b32 v[10:11], v12, off
.LBB0_58:
	s_or_b32 exec_lo, exec_lo, s6
	s_delay_alu instid0(SALU_CYCLE_1)
	s_mov_b32 s6, exec_lo
	v_cmpx_gt_u64_e64 s[4:5], v[5:6]
	s_cbranch_execz .LBB0_60
; %bb.59:
	v_add_co_u32 v7, vcc_lo, v4, v5
	v_add_co_ci_u32_e32 v8, vcc_lo, v2, v6, vcc_lo
	v_add_co_u32 v4, vcc_lo, v1, v5
	v_add_co_ci_u32_e32 v5, vcc_lo, v9, v6, vcc_lo
	global_load_u16 v2, v[7:8], off
	s_waitcnt vmcnt(0)
	global_store_b16 v[4:5], v2, off
.LBB0_60:
	s_or_b32 exec_lo, exec_lo, s6
	v_add_co_u32 v1, vcc_lo, v1, s4
	v_add_co_ci_u32_e32 v9, vcc_lo, s5, v9, vcc_lo
.LBB0_61:
	s_cmp_eq_u64 s[42:43], 0
	s_cbranch_scc1 .LBB0_71
; %bb.62:
	s_load_b32 s6, s[2:3], 0x0
	v_mov_b32_e32 v8, 0
	s_mul_hi_u32 s7, s38, s28
	s_mul_i32 s8, s39, s28
	s_waitcnt lgkmcnt(0)
	s_cmp_lt_u32 s14, s6
	s_cselect_b32 s4, 12, 18
	s_delay_alu instid0(SALU_CYCLE_1)
	s_add_u32 s4, s2, s4
	s_addc_u32 s5, s3, 0
	global_load_u16 v7, v8, s[4:5]
	s_mul_i32 s4, s38, s28
	s_mul_i32 s5, s38, s29
	v_mad_u64_u32 v[4:5], null, s4, v3, s[42:43]
	s_add_i32 s5, s7, s5
	s_mov_b32 s7, exec_lo
	s_add_i32 s5, s5, s8
	s_mov_b32 s8, 0
	s_delay_alu instid0(VALU_DEP_1) | instskip(SKIP_3) | instid1(VALU_DEP_1)
	v_mov_b32_e32 v2, v5
	s_waitcnt vmcnt(0)
	v_mad_u64_u32 v[10:11], null, s14, v7, v[0:1]
	v_mov_b32_e32 v11, v8
	v_lshlrev_b64 v[5:6], 3, v[10:11]
	v_mad_u64_u32 v[10:11], null, s5, v3, v[2:3]
	s_delay_alu instid0(VALU_DEP_2) | instskip(NEXT) | instid1(VALU_DEP_3)
	v_add_co_u32 v11, vcc_lo, v5, 8
	v_add_co_ci_u32_e32 v12, vcc_lo, 0, v6, vcc_lo
	s_delay_alu instid0(VALU_DEP_3) | instskip(NEXT) | instid1(VALU_DEP_2)
	v_mov_b32_e32 v2, v10
	v_cmpx_ge_u64_e64 s[4:5], v[11:12]
	s_cbranch_execz .LBB0_66
; %bb.63:
	v_mul_lo_u32 v7, s6, v7
	s_delay_alu instid0(VALU_DEP_1)
	v_lshlrev_b64 v[7:8], 3, v[7:8]
	.p2align	6
.LBB0_64:                               ; =>This Inner Loop Header: Depth=1
	v_add_co_u32 v10, vcc_lo, v4, v5
	v_add_co_ci_u32_e32 v11, vcc_lo, v2, v6, vcc_lo
	v_add_co_u32 v12, vcc_lo, v1, v5
	v_add_co_ci_u32_e32 v13, vcc_lo, v9, v6, vcc_lo
	global_load_b64 v[10:11], v[10:11], off
	v_add_co_u32 v5, vcc_lo, v5, v7
	v_add_co_ci_u32_e32 v6, vcc_lo, v6, v8, vcc_lo
	s_delay_alu instid0(VALU_DEP_2) | instskip(NEXT) | instid1(VALU_DEP_2)
	v_add_co_u32 v14, vcc_lo, v5, 8
	v_add_co_ci_u32_e32 v15, vcc_lo, 0, v6, vcc_lo
	s_delay_alu instid0(VALU_DEP_1)
	v_cmp_lt_u64_e32 vcc_lo, s[4:5], v[14:15]
	s_or_b32 s8, vcc_lo, s8
	s_waitcnt vmcnt(0)
	global_store_b64 v[12:13], v[10:11], off
	s_and_not1_b32 exec_lo, exec_lo, s8
	s_cbranch_execnz .LBB0_64
; %bb.65:
	s_or_b32 exec_lo, exec_lo, s8
.LBB0_66:
	s_delay_alu instid0(SALU_CYCLE_1) | instskip(SKIP_3) | instid1(VALU_DEP_1)
	s_or_b32 exec_lo, exec_lo, s7
	v_or_b32_e32 v7, 4, v5
	v_mov_b32_e32 v8, v6
	s_mov_b32 s6, exec_lo
	v_cmpx_ge_u64_e64 s[4:5], v[7:8]
	s_cbranch_execz .LBB0_68
; %bb.67:
	v_add_co_u32 v10, vcc_lo, v4, v5
	v_add_co_ci_u32_e32 v11, vcc_lo, v2, v6, vcc_lo
	global_load_b32 v12, v[10:11], off
	v_add_co_u32 v10, vcc_lo, v1, v5
	v_add_co_ci_u32_e32 v11, vcc_lo, v9, v6, vcc_lo
	v_dual_mov_b32 v5, v7 :: v_dual_mov_b32 v6, v8
	s_waitcnt vmcnt(0)
	global_store_b32 v[10:11], v12, off
.LBB0_68:
	s_or_b32 exec_lo, exec_lo, s6
	s_delay_alu instid0(SALU_CYCLE_1)
	s_mov_b32 s6, exec_lo
	v_cmpx_gt_u64_e64 s[4:5], v[5:6]
	s_cbranch_execz .LBB0_70
; %bb.69:
	v_add_co_u32 v7, vcc_lo, v4, v5
	v_add_co_ci_u32_e32 v8, vcc_lo, v2, v6, vcc_lo
	v_add_co_u32 v4, vcc_lo, v1, v5
	v_add_co_ci_u32_e32 v5, vcc_lo, v9, v6, vcc_lo
	global_load_u16 v2, v[7:8], off
	s_waitcnt vmcnt(0)
	global_store_b16 v[4:5], v2, off
.LBB0_70:
	s_or_b32 exec_lo, exec_lo, s6
	v_add_co_u32 v1, vcc_lo, v1, s4
	v_add_co_ci_u32_e32 v9, vcc_lo, s5, v9, vcc_lo
.LBB0_71:
	s_cmp_eq_u64 s[0:1], 0
	s_cbranch_scc1 .LBB0_80
; %bb.72:
	s_load_b32 s4, s[2:3], 0x0
	v_mov_b32_e32 v8, 0
	s_waitcnt lgkmcnt(0)
	s_cmp_lt_u32 s14, s4
	s_cselect_b32 s5, 12, 18
	s_delay_alu instid0(SALU_CYCLE_1)
	s_add_u32 s2, s2, s5
	s_addc_u32 s3, s3, 0
	global_load_u16 v2, v8, s[2:3]
	s_mul_i32 s2, s38, s30
	s_mul_i32 s3, s39, s30
	v_mad_u64_u32 v[4:5], null, s2, v3, s[0:1]
	s_mul_i32 s0, s38, s31
	s_mul_hi_u32 s1, s38, s30
	s_delay_alu instid0(SALU_CYCLE_1)
	s_add_i32 s0, s1, s0
	s_mov_b32 s1, 0
	s_add_i32 s3, s0, s3
	s_mov_b32 s0, exec_lo
	s_waitcnt vmcnt(0)
	v_mad_u64_u32 v[6:7], null, s14, v2, v[0:1]
	v_dual_mov_b32 v7, v8 :: v_dual_mov_b32 v0, v5
	s_delay_alu instid0(VALU_DEP_1) | instskip(NEXT) | instid1(VALU_DEP_2)
	v_mad_u64_u32 v[10:11], null, s3, v3, v[0:1]
	v_lshlrev_b64 v[5:6], 3, v[6:7]
	s_delay_alu instid0(VALU_DEP_1) | instskip(NEXT) | instid1(VALU_DEP_2)
	v_add_co_u32 v11, vcc_lo, v5, 8
	v_add_co_ci_u32_e32 v12, vcc_lo, 0, v6, vcc_lo
	s_delay_alu instid0(VALU_DEP_4) | instskip(NEXT) | instid1(VALU_DEP_2)
	v_mov_b32_e32 v0, v10
	v_cmpx_ge_u64_e64 s[2:3], v[11:12]
	s_cbranch_execz .LBB0_76
; %bb.73:
	v_mul_lo_u32 v7, s4, v2
	s_delay_alu instid0(VALU_DEP_1)
	v_lshlrev_b64 v[2:3], 3, v[7:8]
	.p2align	6
.LBB0_74:                               ; =>This Inner Loop Header: Depth=1
	v_add_co_u32 v7, vcc_lo, v4, v5
	v_add_co_ci_u32_e32 v8, vcc_lo, v0, v6, vcc_lo
	v_add_co_u32 v10, vcc_lo, v1, v5
	v_add_co_ci_u32_e32 v11, vcc_lo, v9, v6, vcc_lo
	global_load_b64 v[7:8], v[7:8], off
	v_add_co_u32 v5, vcc_lo, v5, v2
	v_add_co_ci_u32_e32 v6, vcc_lo, v6, v3, vcc_lo
	s_delay_alu instid0(VALU_DEP_2) | instskip(NEXT) | instid1(VALU_DEP_2)
	v_add_co_u32 v12, vcc_lo, v5, 8
	v_add_co_ci_u32_e32 v13, vcc_lo, 0, v6, vcc_lo
	s_delay_alu instid0(VALU_DEP_1)
	v_cmp_lt_u64_e32 vcc_lo, s[2:3], v[12:13]
	s_or_b32 s1, vcc_lo, s1
	s_waitcnt vmcnt(0)
	global_store_b64 v[10:11], v[7:8], off
	s_and_not1_b32 exec_lo, exec_lo, s1
	s_cbranch_execnz .LBB0_74
; %bb.75:
	s_or_b32 exec_lo, exec_lo, s1
.LBB0_76:
	s_delay_alu instid0(SALU_CYCLE_1) | instskip(SKIP_3) | instid1(VALU_DEP_1)
	s_or_b32 exec_lo, exec_lo, s0
	v_or_b32_e32 v2, 4, v5
	v_mov_b32_e32 v3, v6
	s_mov_b32 s0, exec_lo
	v_cmpx_ge_u64_e64 s[2:3], v[2:3]
	s_cbranch_execz .LBB0_78
; %bb.77:
	v_add_co_u32 v7, vcc_lo, v4, v5
	v_add_co_ci_u32_e32 v8, vcc_lo, v0, v6, vcc_lo
	global_load_b32 v10, v[7:8], off
	v_add_co_u32 v7, vcc_lo, v1, v5
	v_add_co_ci_u32_e32 v8, vcc_lo, v9, v6, vcc_lo
	v_dual_mov_b32 v6, v3 :: v_dual_mov_b32 v5, v2
	s_waitcnt vmcnt(0)
	global_store_b32 v[7:8], v10, off
.LBB0_78:
	s_or_b32 exec_lo, exec_lo, s0
	v_cmp_gt_u64_e32 vcc_lo, s[2:3], v[5:6]
	s_and_b32 exec_lo, exec_lo, vcc_lo
	s_cbranch_execz .LBB0_80
; %bb.79:
	v_add_co_u32 v2, vcc_lo, v4, v5
	v_add_co_ci_u32_e32 v3, vcc_lo, v0, v6, vcc_lo
	v_add_co_u32 v0, vcc_lo, v1, v5
	v_add_co_ci_u32_e32 v1, vcc_lo, v9, v6, vcc_lo
	global_load_u16 v2, v[2:3], off
	s_waitcnt vmcnt(0)
	global_store_b16 v[0:1], v2, off
.LBB0_80:
	s_nop 0
	s_sendmsg sendmsg(MSG_DEALLOC_VGPRS)
	s_endpgm
	.section	.rodata,"a",@progbits
	.p2align	6, 0x0
	.amdhsa_kernel Cat8FwdPacked
		.amdhsa_group_segment_fixed_size 0
		.amdhsa_private_segment_fixed_size 0
		.amdhsa_kernarg_size 416
		.amdhsa_user_sgpr_count 14
		.amdhsa_user_sgpr_dispatch_ptr 0
		.amdhsa_user_sgpr_queue_ptr 0
		.amdhsa_user_sgpr_kernarg_segment_ptr 1
		.amdhsa_user_sgpr_dispatch_id 0
		.amdhsa_user_sgpr_private_segment_size 0
		.amdhsa_wavefront_size32 1
		.amdhsa_uses_dynamic_stack 0
		.amdhsa_enable_private_segment 0
		.amdhsa_system_sgpr_workgroup_id_x 1
		.amdhsa_system_sgpr_workgroup_id_y 1
		.amdhsa_system_sgpr_workgroup_id_z 0
		.amdhsa_system_sgpr_workgroup_info 0
		.amdhsa_system_vgpr_workitem_id 1
		.amdhsa_next_free_vgpr 16
		.amdhsa_next_free_sgpr 44
		.amdhsa_reserve_vcc 1
		.amdhsa_float_round_mode_32 0
		.amdhsa_float_round_mode_16_64 0
		.amdhsa_float_denorm_mode_32 3
		.amdhsa_float_denorm_mode_16_64 3
		.amdhsa_dx10_clamp 1
		.amdhsa_ieee_mode 1
		.amdhsa_fp16_overflow 0
		.amdhsa_workgroup_processor_mode 1
		.amdhsa_memory_ordered 1
		.amdhsa_forward_progress 0
		.amdhsa_shared_vgpr_count 0
		.amdhsa_exception_fp_ieee_invalid_op 0
		.amdhsa_exception_fp_denorm_src 0
		.amdhsa_exception_fp_ieee_div_zero 0
		.amdhsa_exception_fp_ieee_overflow 0
		.amdhsa_exception_fp_ieee_underflow 0
		.amdhsa_exception_fp_ieee_inexact 0
		.amdhsa_exception_int_div_zero 0
	.end_amdhsa_kernel
	.text
.Lfunc_end0:
	.size	Cat8FwdPacked, .Lfunc_end0-Cat8FwdPacked
                                        ; -- End function
	.section	.AMDGPU.csdata,"",@progbits
; Kernel info:
; codeLenInByte = 3824
; NumSgprs: 46
; NumVgprs: 16
; ScratchSize: 0
; MemoryBound: 0
; FloatMode: 240
; IeeeMode: 1
; LDSByteSize: 0 bytes/workgroup (compile time only)
; SGPRBlocks: 5
; VGPRBlocks: 1
; NumSGPRsForWavesPerEU: 46
; NumVGPRsForWavesPerEU: 16
; Occupancy: 16
; WaveLimiterHint : 0
; COMPUTE_PGM_RSRC2:SCRATCH_EN: 0
; COMPUTE_PGM_RSRC2:USER_SGPR: 14
; COMPUTE_PGM_RSRC2:TRAP_HANDLER: 0
; COMPUTE_PGM_RSRC2:TGID_X_EN: 1
; COMPUTE_PGM_RSRC2:TGID_Y_EN: 1
; COMPUTE_PGM_RSRC2:TGID_Z_EN: 0
; COMPUTE_PGM_RSRC2:TIDIG_COMP_CNT: 1
	.text
	.protected	Cat4FwdPacked           ; -- Begin function Cat4FwdPacked
	.globl	Cat4FwdPacked
	.p2align	8
	.type	Cat4FwdPacked,@function
Cat4FwdPacked:                          ; @Cat4FwdPacked
; %bb.0:
	s_clause 0x1
	s_load_b32 s4, s[0:1], 0x6c
	s_load_b128 s[16:19], s[0:1], 0x48
	v_bfe_u32 v1, v0, 10, 10
	s_add_u32 s2, s0, 0x60
	s_addc_u32 s3, s1, 0
	s_waitcnt lgkmcnt(0)
	s_lshr_b32 s4, s4, 16
	s_delay_alu instid0(SALU_CYCLE_1) | instskip(SKIP_2) | instid1(VALU_DEP_1)
	v_mad_u64_u32 v[3:4], null, s15, s4, v[1:2]
	v_mov_b32_e32 v4, 0
	s_mov_b32 s4, exec_lo
	v_cmpx_gt_u64_e64 s[16:17], v[3:4]
	s_cbranch_execz .LBB1_40
; %bb.1:
	s_clause 0x1
	s_load_b64 s[12:13], s[0:1], 0x58
	s_load_b64 s[4:5], s[0:1], 0x20
	v_and_b32_e32 v0, 0x3ff, v0
	s_waitcnt lgkmcnt(0)
	s_mul_i32 s6, s12, s18
	s_mul_i32 s15, s12, s19
	v_mad_u64_u32 v[1:2], null, s6, v3, s[4:5]
	s_clause 0x1
	s_load_b64 s[16:17], s[0:1], 0x0
	s_load_b256 s[4:11], s[0:1], 0x28
	s_mul_hi_u32 s12, s12, s18
	s_mul_i32 s13, s13, s18
	s_add_i32 s12, s12, s15
	s_delay_alu instid0(SALU_CYCLE_1) | instskip(NEXT) | instid1(SALU_CYCLE_1)
	s_add_i32 s12, s12, s13
	v_mad_u64_u32 v[4:5], null, s12, v3, v[2:3]
	s_delay_alu instid0(VALU_DEP_1)
	v_mov_b32_e32 v9, v4
	s_waitcnt lgkmcnt(0)
	s_cmp_eq_u64 s[16:17], 0
	s_cbranch_scc1 .LBB1_11
; %bb.2:
	s_load_b32 s15, s[2:3], 0x0
	v_mov_b32_e32 v8, 0
	s_mul_i32 s5, s18, s5
	s_waitcnt lgkmcnt(0)
	s_cmp_lt_u32 s14, s15
	s_cselect_b32 s12, 12, 18
	s_delay_alu instid0(SALU_CYCLE_1)
	s_add_u32 s12, s2, s12
	s_addc_u32 s13, s3, 0
	global_load_u16 v7, v8, s[12:13]
	s_mul_i32 s12, s18, s4
	s_mul_hi_u32 s13, s18, s4
	v_mad_u64_u32 v[4:5], null, s12, v3, s[16:17]
	s_mul_i32 s4, s19, s4
	s_add_i32 s5, s13, s5
	s_delay_alu instid0(SALU_CYCLE_1) | instskip(SKIP_2) | instid1(VALU_DEP_1)
	s_add_i32 s13, s5, s4
	s_mov_b32 s5, 0
	s_mov_b32 s4, exec_lo
	v_mov_b32_e32 v2, v5
	s_waitcnt vmcnt(0)
	v_mad_u64_u32 v[10:11], null, s14, v7, v[0:1]
	v_mov_b32_e32 v11, v8
	s_delay_alu instid0(VALU_DEP_1) | instskip(SKIP_1) | instid1(VALU_DEP_2)
	v_lshlrev_b64 v[5:6], 3, v[10:11]
	v_mad_u64_u32 v[10:11], null, s13, v3, v[2:3]
	v_add_co_u32 v11, vcc_lo, v5, 8
	s_delay_alu instid0(VALU_DEP_3) | instskip(NEXT) | instid1(VALU_DEP_3)
	v_add_co_ci_u32_e32 v12, vcc_lo, 0, v6, vcc_lo
	v_mov_b32_e32 v2, v10
	s_delay_alu instid0(VALU_DEP_2)
	v_cmpx_ge_u64_e64 s[12:13], v[11:12]
	s_cbranch_execz .LBB1_6
; %bb.3:
	v_mul_lo_u32 v7, s15, v7
	s_delay_alu instid0(VALU_DEP_1)
	v_lshlrev_b64 v[7:8], 3, v[7:8]
	.p2align	6
.LBB1_4:                                ; =>This Inner Loop Header: Depth=1
	v_add_co_u32 v10, vcc_lo, v4, v5
	v_add_co_ci_u32_e32 v11, vcc_lo, v2, v6, vcc_lo
	v_add_co_u32 v12, vcc_lo, v1, v5
	v_add_co_ci_u32_e32 v13, vcc_lo, v9, v6, vcc_lo
	global_load_b64 v[10:11], v[10:11], off
	v_add_co_u32 v5, vcc_lo, v5, v7
	v_add_co_ci_u32_e32 v6, vcc_lo, v6, v8, vcc_lo
	s_delay_alu instid0(VALU_DEP_2) | instskip(NEXT) | instid1(VALU_DEP_2)
	v_add_co_u32 v14, vcc_lo, v5, 8
	v_add_co_ci_u32_e32 v15, vcc_lo, 0, v6, vcc_lo
	s_delay_alu instid0(VALU_DEP_1)
	v_cmp_lt_u64_e32 vcc_lo, s[12:13], v[14:15]
	s_or_b32 s5, vcc_lo, s5
	s_waitcnt vmcnt(0)
	global_store_b64 v[12:13], v[10:11], off
	s_and_not1_b32 exec_lo, exec_lo, s5
	s_cbranch_execnz .LBB1_4
; %bb.5:
	s_or_b32 exec_lo, exec_lo, s5
.LBB1_6:
	s_delay_alu instid0(SALU_CYCLE_1) | instskip(SKIP_3) | instid1(VALU_DEP_1)
	s_or_b32 exec_lo, exec_lo, s4
	v_or_b32_e32 v7, 4, v5
	v_mov_b32_e32 v8, v6
	s_mov_b32 s4, exec_lo
	v_cmpx_ge_u64_e64 s[12:13], v[7:8]
	s_cbranch_execz .LBB1_8
; %bb.7:
	v_add_co_u32 v10, vcc_lo, v4, v5
	v_add_co_ci_u32_e32 v11, vcc_lo, v2, v6, vcc_lo
	global_load_b32 v12, v[10:11], off
	v_add_co_u32 v10, vcc_lo, v1, v5
	v_add_co_ci_u32_e32 v11, vcc_lo, v9, v6, vcc_lo
	v_dual_mov_b32 v5, v7 :: v_dual_mov_b32 v6, v8
	s_waitcnt vmcnt(0)
	global_store_b32 v[10:11], v12, off
.LBB1_8:
	s_or_b32 exec_lo, exec_lo, s4
	s_delay_alu instid0(SALU_CYCLE_1)
	s_mov_b32 s4, exec_lo
	v_cmpx_gt_u64_e64 s[12:13], v[5:6]
	s_cbranch_execz .LBB1_10
; %bb.9:
	v_add_co_u32 v7, vcc_lo, v4, v5
	v_add_co_ci_u32_e32 v8, vcc_lo, v2, v6, vcc_lo
	v_add_co_u32 v4, vcc_lo, v1, v5
	v_add_co_ci_u32_e32 v5, vcc_lo, v9, v6, vcc_lo
	global_load_u16 v2, v[7:8], off
	s_waitcnt vmcnt(0)
	global_store_b16 v[4:5], v2, off
.LBB1_10:
	s_or_b32 exec_lo, exec_lo, s4
	v_add_co_u32 v1, vcc_lo, v1, s12
	v_add_co_ci_u32_e32 v9, vcc_lo, s13, v9, vcc_lo
.LBB1_11:
	s_clause 0x1
	s_load_b128 s[20:23], s[0:1], 0x8
	s_load_b64 s[0:1], s[0:1], 0x18
	s_waitcnt lgkmcnt(0)
	s_cmp_eq_u64 s[20:21], 0
	s_cbranch_scc1 .LBB1_21
; %bb.12:
	s_load_b32 s12, s[2:3], 0x0
	v_mov_b32_e32 v8, 0
	s_waitcnt lgkmcnt(0)
	s_cmp_lt_u32 s14, s12
	s_cselect_b32 s4, 12, 18
	s_delay_alu instid0(SALU_CYCLE_1)
	s_add_u32 s4, s2, s4
	s_addc_u32 s5, s3, 0
	global_load_u16 v7, v8, s[4:5]
	s_mul_i32 s4, s18, s6
	s_mul_i32 s5, s18, s7
	v_mad_u64_u32 v[4:5], null, s4, v3, s[20:21]
	s_mul_hi_u32 s7, s18, s6
	s_mul_i32 s6, s19, s6
	s_add_i32 s5, s7, s5
	s_mov_b32 s7, 0
	s_add_i32 s5, s5, s6
	s_mov_b32 s6, exec_lo
	s_delay_alu instid0(VALU_DEP_1) | instskip(SKIP_3) | instid1(VALU_DEP_1)
	v_mov_b32_e32 v2, v5
	s_waitcnt vmcnt(0)
	v_mad_u64_u32 v[10:11], null, s14, v7, v[0:1]
	v_mov_b32_e32 v11, v8
	v_lshlrev_b64 v[5:6], 3, v[10:11]
	v_mad_u64_u32 v[10:11], null, s5, v3, v[2:3]
	s_delay_alu instid0(VALU_DEP_2) | instskip(NEXT) | instid1(VALU_DEP_3)
	v_add_co_u32 v11, vcc_lo, v5, 8
	v_add_co_ci_u32_e32 v12, vcc_lo, 0, v6, vcc_lo
	s_delay_alu instid0(VALU_DEP_3) | instskip(NEXT) | instid1(VALU_DEP_2)
	v_mov_b32_e32 v2, v10
	v_cmpx_ge_u64_e64 s[4:5], v[11:12]
	s_cbranch_execz .LBB1_16
; %bb.13:
	v_mul_lo_u32 v7, s12, v7
	s_delay_alu instid0(VALU_DEP_1)
	v_lshlrev_b64 v[7:8], 3, v[7:8]
	.p2align	6
.LBB1_14:                               ; =>This Inner Loop Header: Depth=1
	v_add_co_u32 v10, vcc_lo, v4, v5
	v_add_co_ci_u32_e32 v11, vcc_lo, v2, v6, vcc_lo
	v_add_co_u32 v12, vcc_lo, v1, v5
	v_add_co_ci_u32_e32 v13, vcc_lo, v9, v6, vcc_lo
	global_load_b64 v[10:11], v[10:11], off
	v_add_co_u32 v5, vcc_lo, v5, v7
	v_add_co_ci_u32_e32 v6, vcc_lo, v6, v8, vcc_lo
	s_delay_alu instid0(VALU_DEP_2) | instskip(NEXT) | instid1(VALU_DEP_2)
	v_add_co_u32 v14, vcc_lo, v5, 8
	v_add_co_ci_u32_e32 v15, vcc_lo, 0, v6, vcc_lo
	s_delay_alu instid0(VALU_DEP_1)
	v_cmp_lt_u64_e32 vcc_lo, s[4:5], v[14:15]
	s_or_b32 s7, vcc_lo, s7
	s_waitcnt vmcnt(0)
	global_store_b64 v[12:13], v[10:11], off
	s_and_not1_b32 exec_lo, exec_lo, s7
	s_cbranch_execnz .LBB1_14
; %bb.15:
	s_or_b32 exec_lo, exec_lo, s7
.LBB1_16:
	s_delay_alu instid0(SALU_CYCLE_1) | instskip(SKIP_3) | instid1(VALU_DEP_1)
	s_or_b32 exec_lo, exec_lo, s6
	v_or_b32_e32 v7, 4, v5
	v_mov_b32_e32 v8, v6
	s_mov_b32 s6, exec_lo
	v_cmpx_ge_u64_e64 s[4:5], v[7:8]
	s_cbranch_execz .LBB1_18
; %bb.17:
	v_add_co_u32 v10, vcc_lo, v4, v5
	v_add_co_ci_u32_e32 v11, vcc_lo, v2, v6, vcc_lo
	global_load_b32 v12, v[10:11], off
	v_add_co_u32 v10, vcc_lo, v1, v5
	v_add_co_ci_u32_e32 v11, vcc_lo, v9, v6, vcc_lo
	v_dual_mov_b32 v5, v7 :: v_dual_mov_b32 v6, v8
	s_waitcnt vmcnt(0)
	global_store_b32 v[10:11], v12, off
.LBB1_18:
	s_or_b32 exec_lo, exec_lo, s6
	s_delay_alu instid0(SALU_CYCLE_1)
	s_mov_b32 s6, exec_lo
	v_cmpx_gt_u64_e64 s[4:5], v[5:6]
	s_cbranch_execz .LBB1_20
; %bb.19:
	v_add_co_u32 v7, vcc_lo, v4, v5
	v_add_co_ci_u32_e32 v8, vcc_lo, v2, v6, vcc_lo
	v_add_co_u32 v4, vcc_lo, v1, v5
	v_add_co_ci_u32_e32 v5, vcc_lo, v9, v6, vcc_lo
	global_load_u16 v2, v[7:8], off
	s_waitcnt vmcnt(0)
	global_store_b16 v[4:5], v2, off
.LBB1_20:
	s_or_b32 exec_lo, exec_lo, s6
	v_add_co_u32 v1, vcc_lo, v1, s4
	v_add_co_ci_u32_e32 v9, vcc_lo, s5, v9, vcc_lo
.LBB1_21:
	s_cmp_eq_u64 s[22:23], 0
	s_cbranch_scc1 .LBB1_31
; %bb.22:
	s_load_b32 s6, s[2:3], 0x0
	v_mov_b32_e32 v8, 0
	s_mul_hi_u32 s7, s18, s8
	s_waitcnt lgkmcnt(0)
	s_cmp_lt_u32 s14, s6
	s_cselect_b32 s4, 12, 18
	s_delay_alu instid0(SALU_CYCLE_1)
	s_add_u32 s4, s2, s4
	s_addc_u32 s5, s3, 0
	global_load_u16 v7, v8, s[4:5]
	s_mul_i32 s4, s18, s8
	s_mul_i32 s5, s18, s9
	v_mad_u64_u32 v[4:5], null, s4, v3, s[22:23]
	s_mul_i32 s8, s19, s8
	s_add_i32 s5, s7, s5
	s_mov_b32 s7, exec_lo
	s_add_i32 s5, s5, s8
	s_mov_b32 s8, 0
	s_delay_alu instid0(VALU_DEP_1) | instskip(SKIP_3) | instid1(VALU_DEP_1)
	v_mov_b32_e32 v2, v5
	s_waitcnt vmcnt(0)
	v_mad_u64_u32 v[10:11], null, s14, v7, v[0:1]
	v_mov_b32_e32 v11, v8
	v_lshlrev_b64 v[5:6], 3, v[10:11]
	v_mad_u64_u32 v[10:11], null, s5, v3, v[2:3]
	s_delay_alu instid0(VALU_DEP_2) | instskip(NEXT) | instid1(VALU_DEP_3)
	v_add_co_u32 v11, vcc_lo, v5, 8
	v_add_co_ci_u32_e32 v12, vcc_lo, 0, v6, vcc_lo
	s_delay_alu instid0(VALU_DEP_3) | instskip(NEXT) | instid1(VALU_DEP_2)
	v_mov_b32_e32 v2, v10
	v_cmpx_ge_u64_e64 s[4:5], v[11:12]
	s_cbranch_execz .LBB1_26
; %bb.23:
	v_mul_lo_u32 v7, s6, v7
	s_delay_alu instid0(VALU_DEP_1)
	v_lshlrev_b64 v[7:8], 3, v[7:8]
	.p2align	6
.LBB1_24:                               ; =>This Inner Loop Header: Depth=1
	v_add_co_u32 v10, vcc_lo, v4, v5
	v_add_co_ci_u32_e32 v11, vcc_lo, v2, v6, vcc_lo
	v_add_co_u32 v12, vcc_lo, v1, v5
	v_add_co_ci_u32_e32 v13, vcc_lo, v9, v6, vcc_lo
	global_load_b64 v[10:11], v[10:11], off
	v_add_co_u32 v5, vcc_lo, v5, v7
	v_add_co_ci_u32_e32 v6, vcc_lo, v6, v8, vcc_lo
	s_delay_alu instid0(VALU_DEP_2) | instskip(NEXT) | instid1(VALU_DEP_2)
	v_add_co_u32 v14, vcc_lo, v5, 8
	v_add_co_ci_u32_e32 v15, vcc_lo, 0, v6, vcc_lo
	s_delay_alu instid0(VALU_DEP_1)
	v_cmp_lt_u64_e32 vcc_lo, s[4:5], v[14:15]
	s_or_b32 s8, vcc_lo, s8
	s_waitcnt vmcnt(0)
	global_store_b64 v[12:13], v[10:11], off
	s_and_not1_b32 exec_lo, exec_lo, s8
	s_cbranch_execnz .LBB1_24
; %bb.25:
	s_or_b32 exec_lo, exec_lo, s8
.LBB1_26:
	s_delay_alu instid0(SALU_CYCLE_1) | instskip(SKIP_3) | instid1(VALU_DEP_1)
	s_or_b32 exec_lo, exec_lo, s7
	v_or_b32_e32 v7, 4, v5
	v_mov_b32_e32 v8, v6
	s_mov_b32 s6, exec_lo
	v_cmpx_ge_u64_e64 s[4:5], v[7:8]
	s_cbranch_execz .LBB1_28
; %bb.27:
	v_add_co_u32 v10, vcc_lo, v4, v5
	v_add_co_ci_u32_e32 v11, vcc_lo, v2, v6, vcc_lo
	global_load_b32 v12, v[10:11], off
	v_add_co_u32 v10, vcc_lo, v1, v5
	v_add_co_ci_u32_e32 v11, vcc_lo, v9, v6, vcc_lo
	v_dual_mov_b32 v5, v7 :: v_dual_mov_b32 v6, v8
	s_waitcnt vmcnt(0)
	global_store_b32 v[10:11], v12, off
.LBB1_28:
	s_or_b32 exec_lo, exec_lo, s6
	s_delay_alu instid0(SALU_CYCLE_1)
	s_mov_b32 s6, exec_lo
	v_cmpx_gt_u64_e64 s[4:5], v[5:6]
	s_cbranch_execz .LBB1_30
; %bb.29:
	v_add_co_u32 v7, vcc_lo, v4, v5
	v_add_co_ci_u32_e32 v8, vcc_lo, v2, v6, vcc_lo
	v_add_co_u32 v4, vcc_lo, v1, v5
	v_add_co_ci_u32_e32 v5, vcc_lo, v9, v6, vcc_lo
	global_load_u16 v2, v[7:8], off
	s_waitcnt vmcnt(0)
	global_store_b16 v[4:5], v2, off
.LBB1_30:
	s_or_b32 exec_lo, exec_lo, s6
	v_add_co_u32 v1, vcc_lo, v1, s4
	v_add_co_ci_u32_e32 v9, vcc_lo, s5, v9, vcc_lo
.LBB1_31:
	s_cmp_eq_u64 s[0:1], 0
	s_cbranch_scc1 .LBB1_40
; %bb.32:
	s_load_b32 s4, s[2:3], 0x0
	v_mov_b32_e32 v8, 0
	s_waitcnt lgkmcnt(0)
	s_cmp_lt_u32 s14, s4
	s_cselect_b32 s5, 12, 18
	s_delay_alu instid0(SALU_CYCLE_1)
	s_add_u32 s2, s2, s5
	s_addc_u32 s3, s3, 0
	global_load_u16 v2, v8, s[2:3]
	s_mul_i32 s2, s18, s10
	s_mul_i32 s3, s19, s10
	v_mad_u64_u32 v[4:5], null, s2, v3, s[0:1]
	s_mul_i32 s0, s18, s11
	s_mul_hi_u32 s1, s18, s10
	s_delay_alu instid0(SALU_CYCLE_1)
	s_add_i32 s0, s1, s0
	s_mov_b32 s1, 0
	s_add_i32 s3, s0, s3
	s_mov_b32 s0, exec_lo
	s_waitcnt vmcnt(0)
	v_mad_u64_u32 v[6:7], null, s14, v2, v[0:1]
	v_dual_mov_b32 v7, v8 :: v_dual_mov_b32 v0, v5
	s_delay_alu instid0(VALU_DEP_1) | instskip(NEXT) | instid1(VALU_DEP_2)
	v_mad_u64_u32 v[10:11], null, s3, v3, v[0:1]
	v_lshlrev_b64 v[5:6], 3, v[6:7]
	s_delay_alu instid0(VALU_DEP_1) | instskip(NEXT) | instid1(VALU_DEP_2)
	v_add_co_u32 v11, vcc_lo, v5, 8
	v_add_co_ci_u32_e32 v12, vcc_lo, 0, v6, vcc_lo
	s_delay_alu instid0(VALU_DEP_4) | instskip(NEXT) | instid1(VALU_DEP_2)
	v_mov_b32_e32 v0, v10
	v_cmpx_ge_u64_e64 s[2:3], v[11:12]
	s_cbranch_execz .LBB1_36
; %bb.33:
	v_mul_lo_u32 v7, s4, v2
	s_delay_alu instid0(VALU_DEP_1)
	v_lshlrev_b64 v[2:3], 3, v[7:8]
	.p2align	6
.LBB1_34:                               ; =>This Inner Loop Header: Depth=1
	v_add_co_u32 v7, vcc_lo, v4, v5
	v_add_co_ci_u32_e32 v8, vcc_lo, v0, v6, vcc_lo
	v_add_co_u32 v10, vcc_lo, v1, v5
	v_add_co_ci_u32_e32 v11, vcc_lo, v9, v6, vcc_lo
	global_load_b64 v[7:8], v[7:8], off
	v_add_co_u32 v5, vcc_lo, v5, v2
	v_add_co_ci_u32_e32 v6, vcc_lo, v6, v3, vcc_lo
	s_delay_alu instid0(VALU_DEP_2) | instskip(NEXT) | instid1(VALU_DEP_2)
	v_add_co_u32 v12, vcc_lo, v5, 8
	v_add_co_ci_u32_e32 v13, vcc_lo, 0, v6, vcc_lo
	s_delay_alu instid0(VALU_DEP_1)
	v_cmp_lt_u64_e32 vcc_lo, s[2:3], v[12:13]
	s_or_b32 s1, vcc_lo, s1
	s_waitcnt vmcnt(0)
	global_store_b64 v[10:11], v[7:8], off
	s_and_not1_b32 exec_lo, exec_lo, s1
	s_cbranch_execnz .LBB1_34
; %bb.35:
	s_or_b32 exec_lo, exec_lo, s1
.LBB1_36:
	s_delay_alu instid0(SALU_CYCLE_1) | instskip(SKIP_3) | instid1(VALU_DEP_1)
	s_or_b32 exec_lo, exec_lo, s0
	v_or_b32_e32 v2, 4, v5
	v_mov_b32_e32 v3, v6
	s_mov_b32 s0, exec_lo
	v_cmpx_ge_u64_e64 s[2:3], v[2:3]
	s_cbranch_execz .LBB1_38
; %bb.37:
	v_add_co_u32 v7, vcc_lo, v4, v5
	v_add_co_ci_u32_e32 v8, vcc_lo, v0, v6, vcc_lo
	global_load_b32 v10, v[7:8], off
	v_add_co_u32 v7, vcc_lo, v1, v5
	v_add_co_ci_u32_e32 v8, vcc_lo, v9, v6, vcc_lo
	v_dual_mov_b32 v6, v3 :: v_dual_mov_b32 v5, v2
	s_waitcnt vmcnt(0)
	global_store_b32 v[7:8], v10, off
.LBB1_38:
	s_or_b32 exec_lo, exec_lo, s0
	v_cmp_gt_u64_e32 vcc_lo, s[2:3], v[5:6]
	s_and_b32 exec_lo, exec_lo, vcc_lo
	s_cbranch_execz .LBB1_40
; %bb.39:
	v_add_co_u32 v2, vcc_lo, v4, v5
	v_add_co_ci_u32_e32 v3, vcc_lo, v0, v6, vcc_lo
	v_add_co_u32 v0, vcc_lo, v1, v5
	v_add_co_ci_u32_e32 v1, vcc_lo, v9, v6, vcc_lo
	global_load_u16 v2, v[2:3], off
	s_waitcnt vmcnt(0)
	global_store_b16 v[0:1], v2, off
.LBB1_40:
	s_nop 0
	s_sendmsg sendmsg(MSG_DEALLOC_VGPRS)
	s_endpgm
	.section	.rodata,"a",@progbits
	.p2align	6, 0x0
	.amdhsa_kernel Cat4FwdPacked
		.amdhsa_group_segment_fixed_size 0
		.amdhsa_private_segment_fixed_size 0
		.amdhsa_kernarg_size 352
		.amdhsa_user_sgpr_count 14
		.amdhsa_user_sgpr_dispatch_ptr 0
		.amdhsa_user_sgpr_queue_ptr 0
		.amdhsa_user_sgpr_kernarg_segment_ptr 1
		.amdhsa_user_sgpr_dispatch_id 0
		.amdhsa_user_sgpr_private_segment_size 0
		.amdhsa_wavefront_size32 1
		.amdhsa_uses_dynamic_stack 0
		.amdhsa_enable_private_segment 0
		.amdhsa_system_sgpr_workgroup_id_x 1
		.amdhsa_system_sgpr_workgroup_id_y 1
		.amdhsa_system_sgpr_workgroup_id_z 0
		.amdhsa_system_sgpr_workgroup_info 0
		.amdhsa_system_vgpr_workitem_id 1
		.amdhsa_next_free_vgpr 16
		.amdhsa_next_free_sgpr 24
		.amdhsa_reserve_vcc 1
		.amdhsa_float_round_mode_32 0
		.amdhsa_float_round_mode_16_64 0
		.amdhsa_float_denorm_mode_32 3
		.amdhsa_float_denorm_mode_16_64 3
		.amdhsa_dx10_clamp 1
		.amdhsa_ieee_mode 1
		.amdhsa_fp16_overflow 0
		.amdhsa_workgroup_processor_mode 1
		.amdhsa_memory_ordered 1
		.amdhsa_forward_progress 0
		.amdhsa_shared_vgpr_count 0
		.amdhsa_exception_fp_ieee_invalid_op 0
		.amdhsa_exception_fp_denorm_src 0
		.amdhsa_exception_fp_ieee_div_zero 0
		.amdhsa_exception_fp_ieee_overflow 0
		.amdhsa_exception_fp_ieee_underflow 0
		.amdhsa_exception_fp_ieee_inexact 0
		.amdhsa_exception_int_div_zero 0
	.end_amdhsa_kernel
	.text
.Lfunc_end1:
	.size	Cat4FwdPacked, .Lfunc_end1-Cat4FwdPacked
                                        ; -- End function
	.section	.AMDGPU.csdata,"",@progbits
; Kernel info:
; codeLenInByte = 2016
; NumSgprs: 26
; NumVgprs: 16
; ScratchSize: 0
; MemoryBound: 0
; FloatMode: 240
; IeeeMode: 1
; LDSByteSize: 0 bytes/workgroup (compile time only)
; SGPRBlocks: 3
; VGPRBlocks: 1
; NumSGPRsForWavesPerEU: 26
; NumVGPRsForWavesPerEU: 16
; Occupancy: 16
; WaveLimiterHint : 0
; COMPUTE_PGM_RSRC2:SCRATCH_EN: 0
; COMPUTE_PGM_RSRC2:USER_SGPR: 14
; COMPUTE_PGM_RSRC2:TRAP_HANDLER: 0
; COMPUTE_PGM_RSRC2:TGID_X_EN: 1
; COMPUTE_PGM_RSRC2:TGID_Y_EN: 1
; COMPUTE_PGM_RSRC2:TGID_Z_EN: 0
; COMPUTE_PGM_RSRC2:TIDIG_COMP_CNT: 1
	.text
	.protected	Cat2FwdPacked           ; -- Begin function Cat2FwdPacked
	.globl	Cat2FwdPacked
	.p2align	8
	.type	Cat2FwdPacked,@function
Cat2FwdPacked:                          ; @Cat2FwdPacked
; %bb.0:
	s_clause 0x1
	s_load_b32 s12, s[0:1], 0x4c
	s_load_b256 s[4:11], s[0:1], 0x18
	v_bfe_u32 v1, v0, 10, 10
	s_add_u32 s2, s0, 64
	s_addc_u32 s3, s1, 0
	s_waitcnt lgkmcnt(0)
	s_lshr_b32 s12, s12, 16
	s_delay_alu instid0(SALU_CYCLE_1) | instskip(SKIP_1) | instid1(VALU_DEP_1)
	v_mad_u64_u32 v[3:4], null, s15, s12, v[1:2]
	v_mov_b32_e32 v4, 0
	v_cmp_gt_u64_e32 vcc_lo, s[8:9], v[3:4]
	s_and_saveexec_b32 s8, vcc_lo
	s_cbranch_execz .LBB2_20
; %bb.1:
	s_clause 0x1
	s_load_b64 s[8:9], s[0:1], 0x38
	s_load_b64 s[12:13], s[0:1], 0x10
	v_and_b32_e32 v0, 0x3ff, v0
	s_waitcnt lgkmcnt(0)
	s_mul_i32 s15, s8, s10
	s_mul_i32 s9, s9, s10
	v_mad_u64_u32 v[1:2], null, s15, v3, s[12:13]
	s_load_b64 s[12:13], s[0:1], 0x0
	s_mul_i32 s15, s8, s11
	s_mul_hi_u32 s8, s8, s10
	s_delay_alu instid0(SALU_CYCLE_1) | instskip(NEXT) | instid1(SALU_CYCLE_1)
	s_add_i32 s8, s8, s15
	s_add_i32 s8, s8, s9
	s_delay_alu instid0(VALU_DEP_1) | instid1(SALU_CYCLE_1)
	v_mad_u64_u32 v[4:5], null, s8, v3, v[2:3]
	s_delay_alu instid0(VALU_DEP_1)
	v_mov_b32_e32 v9, v4
	s_waitcnt lgkmcnt(0)
	s_cmp_eq_u64 s[12:13], 0
	s_cbranch_scc1 .LBB2_11
; %bb.2:
	s_load_b32 s15, s[2:3], 0x0
	v_mov_b32_e32 v8, 0
	s_mul_i32 s5, s10, s5
	s_waitcnt lgkmcnt(0)
	s_cmp_lt_u32 s14, s15
	s_cselect_b32 s8, 12, 18
	s_delay_alu instid0(SALU_CYCLE_1)
	s_add_u32 s8, s2, s8
	s_addc_u32 s9, s3, 0
	global_load_u16 v7, v8, s[8:9]
	s_mul_i32 s8, s10, s4
	s_mul_hi_u32 s9, s10, s4
	v_mad_u64_u32 v[4:5], null, s8, v3, s[12:13]
	s_mul_i32 s4, s11, s4
	s_add_i32 s5, s9, s5
	s_delay_alu instid0(SALU_CYCLE_1) | instskip(SKIP_2) | instid1(VALU_DEP_1)
	s_add_i32 s9, s5, s4
	s_mov_b32 s5, 0
	s_mov_b32 s4, exec_lo
	v_mov_b32_e32 v2, v5
	s_waitcnt vmcnt(0)
	v_mad_u64_u32 v[10:11], null, s14, v7, v[0:1]
	v_mov_b32_e32 v11, v8
	s_delay_alu instid0(VALU_DEP_1) | instskip(SKIP_1) | instid1(VALU_DEP_2)
	v_lshlrev_b64 v[5:6], 3, v[10:11]
	v_mad_u64_u32 v[10:11], null, s9, v3, v[2:3]
	v_add_co_u32 v11, vcc_lo, v5, 8
	s_delay_alu instid0(VALU_DEP_3) | instskip(NEXT) | instid1(VALU_DEP_3)
	v_add_co_ci_u32_e32 v12, vcc_lo, 0, v6, vcc_lo
	v_mov_b32_e32 v2, v10
	s_delay_alu instid0(VALU_DEP_2)
	v_cmpx_ge_u64_e64 s[8:9], v[11:12]
	s_cbranch_execz .LBB2_6
; %bb.3:
	v_mul_lo_u32 v7, s15, v7
	s_delay_alu instid0(VALU_DEP_1)
	v_lshlrev_b64 v[7:8], 3, v[7:8]
	.p2align	6
.LBB2_4:                                ; =>This Inner Loop Header: Depth=1
	v_add_co_u32 v10, vcc_lo, v4, v5
	v_add_co_ci_u32_e32 v11, vcc_lo, v2, v6, vcc_lo
	v_add_co_u32 v12, vcc_lo, v1, v5
	v_add_co_ci_u32_e32 v13, vcc_lo, v9, v6, vcc_lo
	global_load_b64 v[10:11], v[10:11], off
	v_add_co_u32 v5, vcc_lo, v5, v7
	v_add_co_ci_u32_e32 v6, vcc_lo, v6, v8, vcc_lo
	s_delay_alu instid0(VALU_DEP_2) | instskip(NEXT) | instid1(VALU_DEP_2)
	v_add_co_u32 v14, vcc_lo, v5, 8
	v_add_co_ci_u32_e32 v15, vcc_lo, 0, v6, vcc_lo
	s_delay_alu instid0(VALU_DEP_1)
	v_cmp_lt_u64_e32 vcc_lo, s[8:9], v[14:15]
	s_or_b32 s5, vcc_lo, s5
	s_waitcnt vmcnt(0)
	global_store_b64 v[12:13], v[10:11], off
	s_and_not1_b32 exec_lo, exec_lo, s5
	s_cbranch_execnz .LBB2_4
; %bb.5:
	s_or_b32 exec_lo, exec_lo, s5
.LBB2_6:
	s_delay_alu instid0(SALU_CYCLE_1) | instskip(SKIP_3) | instid1(VALU_DEP_1)
	s_or_b32 exec_lo, exec_lo, s4
	v_or_b32_e32 v7, 4, v5
	v_mov_b32_e32 v8, v6
	s_mov_b32 s4, exec_lo
	v_cmpx_ge_u64_e64 s[8:9], v[7:8]
	s_cbranch_execz .LBB2_8
; %bb.7:
	v_add_co_u32 v10, vcc_lo, v4, v5
	v_add_co_ci_u32_e32 v11, vcc_lo, v2, v6, vcc_lo
	global_load_b32 v12, v[10:11], off
	v_add_co_u32 v10, vcc_lo, v1, v5
	v_add_co_ci_u32_e32 v11, vcc_lo, v9, v6, vcc_lo
	v_dual_mov_b32 v5, v7 :: v_dual_mov_b32 v6, v8
	s_waitcnt vmcnt(0)
	global_store_b32 v[10:11], v12, off
.LBB2_8:
	s_or_b32 exec_lo, exec_lo, s4
	s_delay_alu instid0(SALU_CYCLE_1)
	s_mov_b32 s4, exec_lo
	v_cmpx_gt_u64_e64 s[8:9], v[5:6]
	s_cbranch_execz .LBB2_10
; %bb.9:
	v_add_co_u32 v7, vcc_lo, v4, v5
	v_add_co_ci_u32_e32 v8, vcc_lo, v2, v6, vcc_lo
	v_add_co_u32 v4, vcc_lo, v1, v5
	v_add_co_ci_u32_e32 v5, vcc_lo, v9, v6, vcc_lo
	global_load_u16 v2, v[7:8], off
	s_waitcnt vmcnt(0)
	global_store_b16 v[4:5], v2, off
.LBB2_10:
	s_or_b32 exec_lo, exec_lo, s4
	v_add_co_u32 v1, vcc_lo, v1, s8
	v_add_co_ci_u32_e32 v9, vcc_lo, s9, v9, vcc_lo
.LBB2_11:
	s_load_b64 s[4:5], s[0:1], 0x8
	s_waitcnt lgkmcnt(0)
	s_cmp_eq_u64 s[4:5], 0
	s_cbranch_scc1 .LBB2_20
; %bb.12:
	s_load_b32 s8, s[2:3], 0x0
	v_mov_b32_e32 v8, 0
	s_waitcnt lgkmcnt(0)
	s_cmp_lt_u32 s14, s8
	s_cselect_b32 s0, 12, 18
	s_delay_alu instid0(SALU_CYCLE_1)
	s_add_u32 s0, s2, s0
	s_addc_u32 s1, s3, 0
	s_mul_hi_u32 s2, s10, s6
	global_load_u16 v2, v8, s[0:1]
	s_mul_i32 s0, s10, s6
	s_mul_i32 s1, s10, s7
	v_mad_u64_u32 v[4:5], null, s0, v3, s[4:5]
	s_mul_i32 s3, s11, s6
	s_add_i32 s1, s2, s1
	s_mov_b32 s2, exec_lo
	s_add_i32 s1, s1, s3
	s_mov_b32 s3, 0
	s_waitcnt vmcnt(0)
	v_mad_u64_u32 v[6:7], null, s14, v2, v[0:1]
	v_dual_mov_b32 v7, v8 :: v_dual_mov_b32 v0, v5
	s_delay_alu instid0(VALU_DEP_1) | instskip(NEXT) | instid1(VALU_DEP_2)
	v_mad_u64_u32 v[10:11], null, s1, v3, v[0:1]
	v_lshlrev_b64 v[5:6], 3, v[6:7]
	s_delay_alu instid0(VALU_DEP_1) | instskip(NEXT) | instid1(VALU_DEP_2)
	v_add_co_u32 v11, vcc_lo, v5, 8
	v_add_co_ci_u32_e32 v12, vcc_lo, 0, v6, vcc_lo
	s_delay_alu instid0(VALU_DEP_4) | instskip(NEXT) | instid1(VALU_DEP_2)
	v_mov_b32_e32 v0, v10
	v_cmpx_ge_u64_e64 s[0:1], v[11:12]
	s_cbranch_execz .LBB2_16
; %bb.13:
	v_mul_lo_u32 v7, s8, v2
	s_delay_alu instid0(VALU_DEP_1)
	v_lshlrev_b64 v[2:3], 3, v[7:8]
	.p2align	6
.LBB2_14:                               ; =>This Inner Loop Header: Depth=1
	v_add_co_u32 v7, vcc_lo, v4, v5
	v_add_co_ci_u32_e32 v8, vcc_lo, v0, v6, vcc_lo
	v_add_co_u32 v10, vcc_lo, v1, v5
	v_add_co_ci_u32_e32 v11, vcc_lo, v9, v6, vcc_lo
	global_load_b64 v[7:8], v[7:8], off
	v_add_co_u32 v5, vcc_lo, v5, v2
	v_add_co_ci_u32_e32 v6, vcc_lo, v6, v3, vcc_lo
	s_delay_alu instid0(VALU_DEP_2) | instskip(NEXT) | instid1(VALU_DEP_2)
	v_add_co_u32 v12, vcc_lo, v5, 8
	v_add_co_ci_u32_e32 v13, vcc_lo, 0, v6, vcc_lo
	s_delay_alu instid0(VALU_DEP_1)
	v_cmp_lt_u64_e32 vcc_lo, s[0:1], v[12:13]
	s_or_b32 s3, vcc_lo, s3
	s_waitcnt vmcnt(0)
	global_store_b64 v[10:11], v[7:8], off
	s_and_not1_b32 exec_lo, exec_lo, s3
	s_cbranch_execnz .LBB2_14
; %bb.15:
	s_or_b32 exec_lo, exec_lo, s3
.LBB2_16:
	s_delay_alu instid0(SALU_CYCLE_1) | instskip(SKIP_3) | instid1(VALU_DEP_1)
	s_or_b32 exec_lo, exec_lo, s2
	v_or_b32_e32 v2, 4, v5
	v_mov_b32_e32 v3, v6
	s_mov_b32 s2, exec_lo
	v_cmpx_ge_u64_e64 s[0:1], v[2:3]
	s_cbranch_execz .LBB2_18
; %bb.17:
	v_add_co_u32 v7, vcc_lo, v4, v5
	v_add_co_ci_u32_e32 v8, vcc_lo, v0, v6, vcc_lo
	global_load_b32 v10, v[7:8], off
	v_add_co_u32 v7, vcc_lo, v1, v5
	v_add_co_ci_u32_e32 v8, vcc_lo, v9, v6, vcc_lo
	v_dual_mov_b32 v6, v3 :: v_dual_mov_b32 v5, v2
	s_waitcnt vmcnt(0)
	global_store_b32 v[7:8], v10, off
.LBB2_18:
	s_or_b32 exec_lo, exec_lo, s2
	v_cmp_gt_u64_e32 vcc_lo, s[0:1], v[5:6]
	s_and_b32 exec_lo, exec_lo, vcc_lo
	s_cbranch_execz .LBB2_20
; %bb.19:
	v_add_co_u32 v2, vcc_lo, v4, v5
	v_add_co_ci_u32_e32 v3, vcc_lo, v0, v6, vcc_lo
	v_add_co_u32 v0, vcc_lo, v1, v5
	v_add_co_ci_u32_e32 v1, vcc_lo, v9, v6, vcc_lo
	global_load_u16 v2, v[2:3], off
	s_waitcnt vmcnt(0)
	global_store_b16 v[0:1], v2, off
.LBB2_20:
	s_nop 0
	s_sendmsg sendmsg(MSG_DEALLOC_VGPRS)
	s_endpgm
	.section	.rodata,"a",@progbits
	.p2align	6, 0x0
	.amdhsa_kernel Cat2FwdPacked
		.amdhsa_group_segment_fixed_size 0
		.amdhsa_private_segment_fixed_size 0
		.amdhsa_kernarg_size 320
		.amdhsa_user_sgpr_count 14
		.amdhsa_user_sgpr_dispatch_ptr 0
		.amdhsa_user_sgpr_queue_ptr 0
		.amdhsa_user_sgpr_kernarg_segment_ptr 1
		.amdhsa_user_sgpr_dispatch_id 0
		.amdhsa_user_sgpr_private_segment_size 0
		.amdhsa_wavefront_size32 1
		.amdhsa_uses_dynamic_stack 0
		.amdhsa_enable_private_segment 0
		.amdhsa_system_sgpr_workgroup_id_x 1
		.amdhsa_system_sgpr_workgroup_id_y 1
		.amdhsa_system_sgpr_workgroup_id_z 0
		.amdhsa_system_sgpr_workgroup_info 0
		.amdhsa_system_vgpr_workitem_id 1
		.amdhsa_next_free_vgpr 16
		.amdhsa_next_free_sgpr 16
		.amdhsa_reserve_vcc 1
		.amdhsa_float_round_mode_32 0
		.amdhsa_float_round_mode_16_64 0
		.amdhsa_float_denorm_mode_32 3
		.amdhsa_float_denorm_mode_16_64 3
		.amdhsa_dx10_clamp 1
		.amdhsa_ieee_mode 1
		.amdhsa_fp16_overflow 0
		.amdhsa_workgroup_processor_mode 1
		.amdhsa_memory_ordered 1
		.amdhsa_forward_progress 0
		.amdhsa_shared_vgpr_count 0
		.amdhsa_exception_fp_ieee_invalid_op 0
		.amdhsa_exception_fp_denorm_src 0
		.amdhsa_exception_fp_ieee_div_zero 0
		.amdhsa_exception_fp_ieee_overflow 0
		.amdhsa_exception_fp_ieee_underflow 0
		.amdhsa_exception_fp_ieee_inexact 0
		.amdhsa_exception_int_div_zero 0
	.end_amdhsa_kernel
	.text
.Lfunc_end2:
	.size	Cat2FwdPacked, .Lfunc_end2-Cat2FwdPacked
                                        ; -- End function
	.section	.AMDGPU.csdata,"",@progbits
; Kernel info:
; codeLenInByte = 1080
; NumSgprs: 18
; NumVgprs: 16
; ScratchSize: 0
; MemoryBound: 0
; FloatMode: 240
; IeeeMode: 1
; LDSByteSize: 0 bytes/workgroup (compile time only)
; SGPRBlocks: 2
; VGPRBlocks: 1
; NumSGPRsForWavesPerEU: 18
; NumVGPRsForWavesPerEU: 16
; Occupancy: 16
; WaveLimiterHint : 0
; COMPUTE_PGM_RSRC2:SCRATCH_EN: 0
; COMPUTE_PGM_RSRC2:USER_SGPR: 14
; COMPUTE_PGM_RSRC2:TRAP_HANDLER: 0
; COMPUTE_PGM_RSRC2:TGID_X_EN: 1
; COMPUTE_PGM_RSRC2:TGID_Y_EN: 1
; COMPUTE_PGM_RSRC2:TGID_Z_EN: 0
; COMPUTE_PGM_RSRC2:TIDIG_COMP_CNT: 1
	.text
	.p2alignl 7, 3214868480
	.fill 96, 4, 3214868480
	.type	__hip_cuid_72de5c9cbe018247,@object ; @__hip_cuid_72de5c9cbe018247
	.section	.bss,"aw",@nobits
	.globl	__hip_cuid_72de5c9cbe018247
__hip_cuid_72de5c9cbe018247:
	.byte	0                               ; 0x0
	.size	__hip_cuid_72de5c9cbe018247, 1

	.ident	"AMD clang version 19.0.0git (https://github.com/RadeonOpenCompute/llvm-project roc-6.4.0 25133 c7fe45cf4b819c5991fe208aaa96edf142730f1d)"
	.section	".note.GNU-stack","",@progbits
	.addrsig
	.addrsig_sym __hip_cuid_72de5c9cbe018247
	.amdgpu_metadata
---
amdhsa.kernels:
  - .args:
      - .actual_access:  read_only
        .address_space:  global
        .offset:         0
        .size:           8
        .value_kind:     global_buffer
      - .actual_access:  read_only
        .address_space:  global
        .offset:         8
        .size:           8
        .value_kind:     global_buffer
      - .actual_access:  read_only
        .address_space:  global
        .offset:         16
        .size:           8
        .value_kind:     global_buffer
      - .actual_access:  read_only
        .address_space:  global
        .offset:         24
        .size:           8
        .value_kind:     global_buffer
      - .actual_access:  read_only
        .address_space:  global
        .offset:         32
        .size:           8
        .value_kind:     global_buffer
      - .actual_access:  read_only
        .address_space:  global
        .offset:         40
        .size:           8
        .value_kind:     global_buffer
      - .actual_access:  read_only
        .address_space:  global
        .offset:         48
        .size:           8
        .value_kind:     global_buffer
      - .actual_access:  read_only
        .address_space:  global
        .offset:         56
        .size:           8
        .value_kind:     global_buffer
      - .actual_access:  write_only
        .address_space:  global
        .offset:         64
        .size:           8
        .value_kind:     global_buffer
      - .offset:         72
        .size:           8
        .value_kind:     by_value
      - .offset:         80
        .size:           8
        .value_kind:     by_value
      - .offset:         88
        .size:           8
        .value_kind:     by_value
      - .offset:         96
        .size:           8
        .value_kind:     by_value
      - .offset:         104
        .size:           8
        .value_kind:     by_value
      - .offset:         112
        .size:           8
        .value_kind:     by_value
      - .offset:         120
        .size:           8
        .value_kind:     by_value
      - .offset:         128
        .size:           8
        .value_kind:     by_value
      - .offset:         136
        .size:           8
        .value_kind:     by_value
      - .offset:         144
        .size:           8
        .value_kind:     by_value
      - .offset:         152
        .size:           8
        .value_kind:     by_value
      - .offset:         160
        .size:           4
        .value_kind:     hidden_block_count_x
      - .offset:         164
        .size:           4
        .value_kind:     hidden_block_count_y
      - .offset:         168
        .size:           4
        .value_kind:     hidden_block_count_z
      - .offset:         172
        .size:           2
        .value_kind:     hidden_group_size_x
      - .offset:         174
        .size:           2
        .value_kind:     hidden_group_size_y
      - .offset:         176
        .size:           2
        .value_kind:     hidden_group_size_z
      - .offset:         178
        .size:           2
        .value_kind:     hidden_remainder_x
      - .offset:         180
        .size:           2
        .value_kind:     hidden_remainder_y
      - .offset:         182
        .size:           2
        .value_kind:     hidden_remainder_z
      - .offset:         200
        .size:           8
        .value_kind:     hidden_global_offset_x
      - .offset:         208
        .size:           8
        .value_kind:     hidden_global_offset_y
      - .offset:         216
        .size:           8
        .value_kind:     hidden_global_offset_z
      - .offset:         224
        .size:           2
        .value_kind:     hidden_grid_dims
    .group_segment_fixed_size: 0
    .kernarg_segment_align: 8
    .kernarg_segment_size: 416
    .language:       OpenCL C
    .language_version:
      - 2
      - 0
    .max_flat_workgroup_size: 1024
    .name:           Cat8FwdPacked
    .private_segment_fixed_size: 0
    .sgpr_count:     46
    .sgpr_spill_count: 0
    .symbol:         Cat8FwdPacked.kd
    .uniform_work_group_size: 1
    .uses_dynamic_stack: false
    .vgpr_count:     16
    .vgpr_spill_count: 0
    .wavefront_size: 32
    .workgroup_processor_mode: 1
  - .args:
      - .actual_access:  read_only
        .address_space:  global
        .offset:         0
        .size:           8
        .value_kind:     global_buffer
      - .actual_access:  read_only
        .address_space:  global
        .offset:         8
        .size:           8
        .value_kind:     global_buffer
      - .actual_access:  read_only
        .address_space:  global
        .offset:         16
        .size:           8
        .value_kind:     global_buffer
      - .actual_access:  read_only
        .address_space:  global
        .offset:         24
        .size:           8
        .value_kind:     global_buffer
      - .actual_access:  write_only
        .address_space:  global
        .offset:         32
        .size:           8
        .value_kind:     global_buffer
      - .offset:         40
        .size:           8
        .value_kind:     by_value
      - .offset:         48
        .size:           8
        .value_kind:     by_value
      - .offset:         56
        .size:           8
        .value_kind:     by_value
      - .offset:         64
        .size:           8
        .value_kind:     by_value
      - .offset:         72
        .size:           8
        .value_kind:     by_value
      - .offset:         80
        .size:           8
        .value_kind:     by_value
      - .offset:         88
        .size:           8
        .value_kind:     by_value
      - .offset:         96
        .size:           4
        .value_kind:     hidden_block_count_x
      - .offset:         100
        .size:           4
        .value_kind:     hidden_block_count_y
      - .offset:         104
        .size:           4
        .value_kind:     hidden_block_count_z
      - .offset:         108
        .size:           2
        .value_kind:     hidden_group_size_x
      - .offset:         110
        .size:           2
        .value_kind:     hidden_group_size_y
      - .offset:         112
        .size:           2
        .value_kind:     hidden_group_size_z
      - .offset:         114
        .size:           2
        .value_kind:     hidden_remainder_x
      - .offset:         116
        .size:           2
        .value_kind:     hidden_remainder_y
      - .offset:         118
        .size:           2
        .value_kind:     hidden_remainder_z
      - .offset:         136
        .size:           8
        .value_kind:     hidden_global_offset_x
      - .offset:         144
        .size:           8
        .value_kind:     hidden_global_offset_y
      - .offset:         152
        .size:           8
        .value_kind:     hidden_global_offset_z
      - .offset:         160
        .size:           2
        .value_kind:     hidden_grid_dims
    .group_segment_fixed_size: 0
    .kernarg_segment_align: 8
    .kernarg_segment_size: 352
    .language:       OpenCL C
    .language_version:
      - 2
      - 0
    .max_flat_workgroup_size: 1024
    .name:           Cat4FwdPacked
    .private_segment_fixed_size: 0
    .sgpr_count:     26
    .sgpr_spill_count: 0
    .symbol:         Cat4FwdPacked.kd
    .uniform_work_group_size: 1
    .uses_dynamic_stack: false
    .vgpr_count:     16
    .vgpr_spill_count: 0
    .wavefront_size: 32
    .workgroup_processor_mode: 1
  - .args:
      - .actual_access:  read_only
        .address_space:  global
        .offset:         0
        .size:           8
        .value_kind:     global_buffer
      - .actual_access:  read_only
        .address_space:  global
        .offset:         8
        .size:           8
        .value_kind:     global_buffer
      - .actual_access:  write_only
        .address_space:  global
        .offset:         16
        .size:           8
        .value_kind:     global_buffer
      - .offset:         24
        .size:           8
        .value_kind:     by_value
      - .offset:         32
        .size:           8
        .value_kind:     by_value
      - .offset:         40
        .size:           8
        .value_kind:     by_value
      - .offset:         48
        .size:           8
        .value_kind:     by_value
      - .offset:         56
        .size:           8
        .value_kind:     by_value
      - .offset:         64
        .size:           4
        .value_kind:     hidden_block_count_x
      - .offset:         68
        .size:           4
        .value_kind:     hidden_block_count_y
      - .offset:         72
        .size:           4
        .value_kind:     hidden_block_count_z
      - .offset:         76
        .size:           2
        .value_kind:     hidden_group_size_x
      - .offset:         78
        .size:           2
        .value_kind:     hidden_group_size_y
      - .offset:         80
        .size:           2
        .value_kind:     hidden_group_size_z
      - .offset:         82
        .size:           2
        .value_kind:     hidden_remainder_x
      - .offset:         84
        .size:           2
        .value_kind:     hidden_remainder_y
      - .offset:         86
        .size:           2
        .value_kind:     hidden_remainder_z
      - .offset:         104
        .size:           8
        .value_kind:     hidden_global_offset_x
      - .offset:         112
        .size:           8
        .value_kind:     hidden_global_offset_y
      - .offset:         120
        .size:           8
        .value_kind:     hidden_global_offset_z
      - .offset:         128
        .size:           2
        .value_kind:     hidden_grid_dims
    .group_segment_fixed_size: 0
    .kernarg_segment_align: 8
    .kernarg_segment_size: 320
    .language:       OpenCL C
    .language_version:
      - 2
      - 0
    .max_flat_workgroup_size: 1024
    .name:           Cat2FwdPacked
    .private_segment_fixed_size: 0
    .sgpr_count:     18
    .sgpr_spill_count: 0
    .symbol:         Cat2FwdPacked.kd
    .uniform_work_group_size: 1
    .uses_dynamic_stack: false
    .vgpr_count:     16
    .vgpr_spill_count: 0
    .wavefront_size: 32
    .workgroup_processor_mode: 1
amdhsa.target:   amdgcn-amd-amdhsa--gfx1100
amdhsa.version:
  - 1
  - 2
...

	.end_amdgpu_metadata
